;; amdgpu-corpus repo=zjin-lcf/HeCBench kind=compiled arch=gfx950 opt=O3
	.amdgcn_target "amdgcn-amd-amdhsa--gfx950"
	.amdhsa_code_object_version 6
	.text
	.protected	_Z17copy_to_fft_inputPVfPKfiii ; -- Begin function _Z17copy_to_fft_inputPVfPKfiii
	.globl	_Z17copy_to_fft_inputPVfPKfiii
	.p2align	8
	.type	_Z17copy_to_fft_inputPVfPKfiii,@function
_Z17copy_to_fft_inputPVfPKfiii:         ; @_Z17copy_to_fft_inputPVfPKfiii
; %bb.0:
	s_load_dword s3, s[0:1], 0x2c
	s_load_dwordx4 s[4:7], s[0:1], 0x10
	s_waitcnt lgkmcnt(0)
	s_and_b32 s3, s3, 0xffff
	s_mul_i32 s7, s5, s5
	s_mul_i32 s2, s2, s3
	v_add_u32_e32 v0, s2, v0
	s_mul_i32 s2, s7, s6
	v_cmp_gt_i32_e32 vcc, s2, v0
	s_and_saveexec_b64 s[2:3], vcc
	s_cbranch_execz .LBB0_2
; %bb.1:
	s_abs_i32 s8, s7
	v_cvt_f32_u32_e32 v1, s8
	s_sub_i32 s9, 0, s8
	v_sub_u32_e32 v3, 0, v0
	v_max_i32_e32 v3, v0, v3
	v_rcp_iflag_f32_e32 v1, v1
	v_xor_b32_e32 v2, s7, v0
	v_ashrrev_i32_e32 v2, 31, v2
	s_load_dwordx4 s[0:3], s[0:1], 0x0
	v_mul_f32_e32 v1, 0x4f7ffffe, v1
	v_cvt_u32_f32_e32 v1, v1
	v_mul_lo_u32 v4, s9, v1
	v_mul_hi_u32 v4, v1, v4
	v_add_u32_e32 v1, v1, v4
	v_mul_hi_u32 v1, v3, v1
	v_mul_lo_u32 v4, v1, s8
	v_sub_u32_e32 v3, v3, v4
	v_add_u32_e32 v5, 1, v1
	v_cmp_le_u32_e32 vcc, s8, v3
	v_subrev_u32_e32 v4, s8, v3
	s_nop 0
	v_cndmask_b32_e32 v1, v1, v5, vcc
	v_cndmask_b32_e32 v3, v3, v4, vcc
	v_add_u32_e32 v4, 1, v1
	v_cmp_le_u32_e32 vcc, s8, v3
	s_nop 1
	v_cndmask_b32_e32 v1, v1, v4, vcc
	v_xor_b32_e32 v1, v1, v2
	v_sub_u32_e32 v2, v1, v2
	v_mul_lo_u32 v1, v2, s7
	v_sub_u32_e32 v3, v0, v1
	v_mad_u64_u32 v[0:1], s[6:7], v3, s6, v[2:3]
	v_ashrrev_i32_e32 v1, 31, v0
	s_waitcnt lgkmcnt(0)
	v_lshl_add_u64 v[0:1], v[0:1], 2, s[2:3]
	global_load_dword v5, v[0:1], off
	s_abs_i32 s2, s5
	v_cvt_f32_u32_e32 v0, s2
	s_sub_i32 s3, 0, s2
	v_sub_u32_e32 v4, 0, v3
	v_max_i32_e32 v4, v3, v4
	v_rcp_iflag_f32_e32 v0, v0
	v_xor_b32_e32 v1, s5, v3
	v_ashrrev_i32_e32 v1, 31, v1
	v_mul_f32_e32 v0, 0x4f7ffffe, v0
	v_cvt_u32_f32_e32 v0, v0
	v_mul_lo_u32 v6, s3, v0
	v_mul_hi_u32 v6, v0, v6
	v_add_u32_e32 v0, v0, v6
	v_mul_hi_u32 v0, v4, v0
	v_mul_lo_u32 v6, v0, s2
	v_sub_u32_e32 v4, v4, v6
	v_add_u32_e32 v6, 1, v0
	v_cmp_le_u32_e32 vcc, s2, v4
	s_nop 1
	v_cndmask_b32_e32 v0, v0, v6, vcc
	v_subrev_u32_e32 v6, s2, v4
	v_cndmask_b32_e32 v4, v4, v6, vcc
	v_add_u32_e32 v6, 1, v0
	v_cmp_le_u32_e32 vcc, s2, v4
	s_nop 1
	v_cndmask_b32_e32 v0, v0, v6, vcc
	v_xor_b32_e32 v0, v0, v1
	v_sub_u32_e32 v0, v0, v1
	v_mul_lo_u32 v1, v0, s5
	v_sub_u32_e32 v4, v3, v1
	v_mad_u64_u32 v[0:1], s[2:3], v2, s4, v[0:1]
	s_waitcnt vmcnt(0)
	v_mad_u64_u32 v[0:1], s[2:3], v0, s4, v[4:5]
	v_ashrrev_i32_e32 v1, 31, v0
	v_lshl_add_u64 v[0:1], v[0:1], 2, s[0:1]
	flat_store_dword v[0:1], v5 sc0 sc1
	s_waitcnt vmcnt(0)
.LBB0_2:
	s_endpgm
	.section	.rodata,"a",@progbits
	.p2align	6, 0x0
	.amdhsa_kernel _Z17copy_to_fft_inputPVfPKfiii
		.amdhsa_group_segment_fixed_size 0
		.amdhsa_private_segment_fixed_size 0
		.amdhsa_kernarg_size 288
		.amdhsa_user_sgpr_count 2
		.amdhsa_user_sgpr_dispatch_ptr 0
		.amdhsa_user_sgpr_queue_ptr 0
		.amdhsa_user_sgpr_kernarg_segment_ptr 1
		.amdhsa_user_sgpr_dispatch_id 0
		.amdhsa_user_sgpr_kernarg_preload_length 0
		.amdhsa_user_sgpr_kernarg_preload_offset 0
		.amdhsa_user_sgpr_private_segment_size 0
		.amdhsa_uses_dynamic_stack 0
		.amdhsa_enable_private_segment 0
		.amdhsa_system_sgpr_workgroup_id_x 1
		.amdhsa_system_sgpr_workgroup_id_y 0
		.amdhsa_system_sgpr_workgroup_id_z 0
		.amdhsa_system_sgpr_workgroup_info 0
		.amdhsa_system_vgpr_workitem_id 0
		.amdhsa_next_free_vgpr 7
		.amdhsa_next_free_sgpr 10
		.amdhsa_accum_offset 8
		.amdhsa_reserve_vcc 1
		.amdhsa_float_round_mode_32 0
		.amdhsa_float_round_mode_16_64 0
		.amdhsa_float_denorm_mode_32 3
		.amdhsa_float_denorm_mode_16_64 3
		.amdhsa_dx10_clamp 1
		.amdhsa_ieee_mode 1
		.amdhsa_fp16_overflow 0
		.amdhsa_tg_split 0
		.amdhsa_exception_fp_ieee_invalid_op 0
		.amdhsa_exception_fp_denorm_src 0
		.amdhsa_exception_fp_ieee_div_zero 0
		.amdhsa_exception_fp_ieee_overflow 0
		.amdhsa_exception_fp_ieee_underflow 0
		.amdhsa_exception_fp_ieee_inexact 0
		.amdhsa_exception_int_div_zero 0
	.end_amdhsa_kernel
	.text
.Lfunc_end0:
	.size	_Z17copy_to_fft_inputPVfPKfiii, .Lfunc_end0-_Z17copy_to_fft_inputPVfPKfiii
                                        ; -- End function
	.set _Z17copy_to_fft_inputPVfPKfiii.num_vgpr, 7
	.set _Z17copy_to_fft_inputPVfPKfiii.num_agpr, 0
	.set _Z17copy_to_fft_inputPVfPKfiii.numbered_sgpr, 10
	.set _Z17copy_to_fft_inputPVfPKfiii.num_named_barrier, 0
	.set _Z17copy_to_fft_inputPVfPKfiii.private_seg_size, 0
	.set _Z17copy_to_fft_inputPVfPKfiii.uses_vcc, 1
	.set _Z17copy_to_fft_inputPVfPKfiii.uses_flat_scratch, 0
	.set _Z17copy_to_fft_inputPVfPKfiii.has_dyn_sized_stack, 0
	.set _Z17copy_to_fft_inputPVfPKfiii.has_recursion, 0
	.set _Z17copy_to_fft_inputPVfPKfiii.has_indirect_call, 0
	.section	.AMDGPU.csdata,"",@progbits
; Kernel info:
; codeLenInByte = 432
; TotalNumSgprs: 16
; NumVgprs: 7
; NumAgprs: 0
; TotalNumVgprs: 7
; ScratchSize: 0
; MemoryBound: 0
; FloatMode: 240
; IeeeMode: 1
; LDSByteSize: 0 bytes/workgroup (compile time only)
; SGPRBlocks: 1
; VGPRBlocks: 0
; NumSGPRsForWavesPerEU: 16
; NumVGPRsForWavesPerEU: 7
; AccumOffset: 8
; Occupancy: 8
; WaveLimiterHint : 0
; COMPUTE_PGM_RSRC2:SCRATCH_EN: 0
; COMPUTE_PGM_RSRC2:USER_SGPR: 2
; COMPUTE_PGM_RSRC2:TRAP_HANDLER: 0
; COMPUTE_PGM_RSRC2:TGID_X_EN: 1
; COMPUTE_PGM_RSRC2:TGID_Y_EN: 0
; COMPUTE_PGM_RSRC2:TGID_Z_EN: 0
; COMPUTE_PGM_RSRC2:TIDIG_COMP_CNT: 0
; COMPUTE_PGM_RSRC3_GFX90A:ACCUM_OFFSET: 1
; COMPUTE_PGM_RSRC3_GFX90A:TG_SPLIT: 0
	.text
	.protected	_Z20copy_from_fft_outputPVfPKfiii ; -- Begin function _Z20copy_from_fft_outputPVfPKfiii
	.globl	_Z20copy_from_fft_outputPVfPKfiii
	.p2align	8
	.type	_Z20copy_from_fft_outputPVfPKfiii,@function
_Z20copy_from_fft_outputPVfPKfiii:      ; @_Z20copy_from_fft_outputPVfPKfiii
; %bb.0:
	s_load_dword s3, s[0:1], 0x2c
	s_load_dwordx4 s[4:7], s[0:1], 0x10
	s_waitcnt lgkmcnt(0)
	s_and_b32 s3, s3, 0xffff
	s_mul_i32 s7, s5, s5
	s_mul_i32 s2, s2, s3
	v_add_u32_e32 v0, s2, v0
	s_mul_i32 s2, s7, s6
	v_cmp_gt_i32_e32 vcc, s2, v0
	s_and_saveexec_b64 s[2:3], vcc
	s_cbranch_execz .LBB1_2
; %bb.1:
	s_abs_i32 s8, s7
	v_cvt_f32_u32_e32 v1, s8
	s_sub_i32 s9, 0, s8
	v_sub_u32_e32 v3, 0, v0
	v_max_i32_e32 v3, v0, v3
	v_rcp_iflag_f32_e32 v1, v1
	v_xor_b32_e32 v2, s7, v0
	v_ashrrev_i32_e32 v2, 31, v2
	s_load_dwordx4 s[0:3], s[0:1], 0x0
	v_mul_f32_e32 v1, 0x4f7ffffe, v1
	v_cvt_u32_f32_e32 v1, v1
	v_mul_lo_u32 v4, s9, v1
	v_mul_hi_u32 v4, v1, v4
	v_add_u32_e32 v1, v1, v4
	v_mul_hi_u32 v1, v3, v1
	v_mul_lo_u32 v4, v1, s8
	v_sub_u32_e32 v3, v3, v4
	v_cmp_le_u32_e32 vcc, s8, v3
	v_subrev_u32_e32 v4, s8, v3
	v_add_u32_e32 v5, 1, v1
	v_cndmask_b32_e32 v3, v3, v4, vcc
	v_cndmask_b32_e32 v1, v1, v5, vcc
	v_cmp_le_u32_e32 vcc, s8, v3
	s_abs_i32 s8, s5
	v_cvt_f32_u32_e32 v3, s8
	v_add_u32_e32 v4, 1, v1
	v_cndmask_b32_e32 v1, v1, v4, vcc
	v_xor_b32_e32 v1, v1, v2
	v_rcp_iflag_f32_e32 v3, v3
	v_sub_u32_e32 v2, v1, v2
	v_mul_lo_u32 v1, v2, s7
	v_sub_u32_e32 v4, v0, v1
	v_mul_f32_e32 v1, 0x4f7ffffe, v3
	v_cvt_u32_f32_e32 v1, v1
	s_sub_i32 s7, 0, s8
	v_sub_u32_e32 v3, 0, v4
	v_max_i32_e32 v3, v4, v3
	v_mul_lo_u32 v5, s7, v1
	v_mul_hi_u32 v5, v1, v5
	v_add_u32_e32 v1, v1, v5
	v_mul_hi_u32 v1, v3, v1
	v_mul_lo_u32 v5, v1, s8
	v_sub_u32_e32 v3, v3, v5
	v_add_u32_e32 v5, 1, v1
	v_cmp_le_u32_e32 vcc, s8, v3
	v_xor_b32_e32 v0, s5, v4
	v_ashrrev_i32_e32 v0, 31, v0
	v_cndmask_b32_e32 v1, v1, v5, vcc
	v_subrev_u32_e32 v5, s8, v3
	v_cndmask_b32_e32 v3, v3, v5, vcc
	v_add_u32_e32 v5, 1, v1
	v_cmp_le_u32_e32 vcc, s8, v3
	s_mul_i32 s7, s4, s4
	v_mul_lo_u32 v3, v2, s7
	v_cndmask_b32_e32 v1, v1, v5, vcc
	v_xor_b32_e32 v1, v1, v0
	v_sub_u32_e32 v0, v1, v0
	v_add_u32_e32 v1, s5, v0
	v_mul_lo_u32 v0, v0, s5
	v_sub_u32_e32 v0, v4, v0
	v_mul_lo_u32 v1, v1, s4
	v_add_u32_e32 v3, s5, v3
	v_add3_u32 v0, v3, v0, v1
	v_ashrrev_i32_e32 v1, 31, v0
	s_waitcnt lgkmcnt(0)
	v_lshl_add_u64 v[0:1], v[0:1], 2, s[2:3]
	global_load_dword v3, v[0:1], off
	v_cvt_f32_u32_e32 v5, s7
	s_waitcnt vmcnt(0)
	v_mad_u64_u32 v[0:1], s[2:3], v4, s6, v[2:3]
	v_div_scale_f32 v2, s[2:3], v5, v5, v3
	v_rcp_f32_e32 v4, v2
	v_div_scale_f32 v6, vcc, v3, v5, v3
	v_ashrrev_i32_e32 v1, 31, v0
	v_fma_f32 v7, -v2, v4, 1.0
	v_fmac_f32_e32 v4, v7, v4
	v_mul_f32_e32 v7, v6, v4
	v_fma_f32 v8, -v2, v7, v6
	v_fmac_f32_e32 v7, v8, v4
	v_fma_f32 v2, -v2, v7, v6
	v_div_fmas_f32 v2, v2, v4, v7
	v_div_fixup_f32 v2, v2, v5, v3
	v_lshl_add_u64 v[0:1], v[0:1], 2, s[0:1]
	flat_store_dword v[0:1], v2 sc0 sc1
	s_waitcnt vmcnt(0)
.LBB1_2:
	s_endpgm
	.section	.rodata,"a",@progbits
	.p2align	6, 0x0
	.amdhsa_kernel _Z20copy_from_fft_outputPVfPKfiii
		.amdhsa_group_segment_fixed_size 0
		.amdhsa_private_segment_fixed_size 0
		.amdhsa_kernarg_size 288
		.amdhsa_user_sgpr_count 2
		.amdhsa_user_sgpr_dispatch_ptr 0
		.amdhsa_user_sgpr_queue_ptr 0
		.amdhsa_user_sgpr_kernarg_segment_ptr 1
		.amdhsa_user_sgpr_dispatch_id 0
		.amdhsa_user_sgpr_kernarg_preload_length 0
		.amdhsa_user_sgpr_kernarg_preload_offset 0
		.amdhsa_user_sgpr_private_segment_size 0
		.amdhsa_uses_dynamic_stack 0
		.amdhsa_enable_private_segment 0
		.amdhsa_system_sgpr_workgroup_id_x 1
		.amdhsa_system_sgpr_workgroup_id_y 0
		.amdhsa_system_sgpr_workgroup_id_z 0
		.amdhsa_system_sgpr_workgroup_info 0
		.amdhsa_system_vgpr_workitem_id 0
		.amdhsa_next_free_vgpr 9
		.amdhsa_next_free_sgpr 10
		.amdhsa_accum_offset 12
		.amdhsa_reserve_vcc 1
		.amdhsa_float_round_mode_32 0
		.amdhsa_float_round_mode_16_64 0
		.amdhsa_float_denorm_mode_32 3
		.amdhsa_float_denorm_mode_16_64 3
		.amdhsa_dx10_clamp 1
		.amdhsa_ieee_mode 1
		.amdhsa_fp16_overflow 0
		.amdhsa_tg_split 0
		.amdhsa_exception_fp_ieee_invalid_op 0
		.amdhsa_exception_fp_denorm_src 0
		.amdhsa_exception_fp_ieee_div_zero 0
		.amdhsa_exception_fp_ieee_overflow 0
		.amdhsa_exception_fp_ieee_underflow 0
		.amdhsa_exception_fp_ieee_inexact 0
		.amdhsa_exception_int_div_zero 0
	.end_amdhsa_kernel
	.text
.Lfunc_end1:
	.size	_Z20copy_from_fft_outputPVfPKfiii, .Lfunc_end1-_Z20copy_from_fft_outputPVfPKfiii
                                        ; -- End function
	.set _Z20copy_from_fft_outputPVfPKfiii.num_vgpr, 9
	.set _Z20copy_from_fft_outputPVfPKfiii.num_agpr, 0
	.set _Z20copy_from_fft_outputPVfPKfiii.numbered_sgpr, 10
	.set _Z20copy_from_fft_outputPVfPKfiii.num_named_barrier, 0
	.set _Z20copy_from_fft_outputPVfPKfiii.private_seg_size, 0
	.set _Z20copy_from_fft_outputPVfPKfiii.uses_vcc, 1
	.set _Z20copy_from_fft_outputPVfPKfiii.uses_flat_scratch, 0
	.set _Z20copy_from_fft_outputPVfPKfiii.has_dyn_sized_stack, 0
	.set _Z20copy_from_fft_outputPVfPKfiii.has_recursion, 0
	.set _Z20copy_from_fft_outputPVfPKfiii.has_indirect_call, 0
	.section	.AMDGPU.csdata,"",@progbits
; Kernel info:
; codeLenInByte = 512
; TotalNumSgprs: 16
; NumVgprs: 9
; NumAgprs: 0
; TotalNumVgprs: 9
; ScratchSize: 0
; MemoryBound: 0
; FloatMode: 240
; IeeeMode: 1
; LDSByteSize: 0 bytes/workgroup (compile time only)
; SGPRBlocks: 1
; VGPRBlocks: 1
; NumSGPRsForWavesPerEU: 16
; NumVGPRsForWavesPerEU: 9
; AccumOffset: 12
; Occupancy: 8
; WaveLimiterHint : 0
; COMPUTE_PGM_RSRC2:SCRATCH_EN: 0
; COMPUTE_PGM_RSRC2:USER_SGPR: 2
; COMPUTE_PGM_RSRC2:TRAP_HANDLER: 0
; COMPUTE_PGM_RSRC2:TGID_X_EN: 1
; COMPUTE_PGM_RSRC2:TGID_Y_EN: 0
; COMPUTE_PGM_RSRC2:TGID_Z_EN: 0
; COMPUTE_PGM_RSRC2:TIDIG_COMP_CNT: 0
; COMPUTE_PGM_RSRC3_GFX90A:ACCUM_OFFSET: 2
; COMPUTE_PGM_RSRC3_GFX90A:TG_SPLIT: 0
	.text
	.protected	_Z21compute_point_box_idxPViPVfS2_PKfS4_S4_ffiii ; -- Begin function _Z21compute_point_box_idxPViPVfS2_PKfS4_S4_ffiii
	.globl	_Z21compute_point_box_idxPViPVfS2_PKfS4_S4_ffiii
	.p2align	8
	.type	_Z21compute_point_box_idxPViPVfS2_PKfS4_S4_ffiii,@function
_Z21compute_point_box_idxPViPVfS2_PKfS4_S4_ffiii: ; @_Z21compute_point_box_idxPViPVfS2_PKfS4_S4_ffiii
; %bb.0:
	s_load_dword s3, s[0:1], 0x54
	s_load_dword s4, s[0:1], 0x40
	s_waitcnt lgkmcnt(0)
	s_and_b32 s3, s3, 0xffff
	s_mul_i32 s2, s2, s3
	v_add_u32_e32 v0, s2, v0
	v_cmp_gt_i32_e32 vcc, s4, v0
	s_and_saveexec_b64 s[2:3], vcc
	s_cbranch_execz .LBB2_2
; %bb.1:
	s_load_dwordx4 s[4:7], s[0:1], 0x18
	s_load_dwordx2 s[12:13], s[0:1], 0x28
	v_ashrrev_i32_e32 v1, 31, v0
	v_lshlrev_b64 v[0:1], 2, v[0:1]
	s_waitcnt lgkmcnt(0)
	v_lshl_add_u64 v[2:3], s[4:5], 0, v[0:1]
	v_lshl_add_u64 v[4:5], s[6:7], 0, v[0:1]
	global_load_dword v6, v[2:3], off
	global_load_dword v7, v[4:5], off
	s_load_dwordx4 s[4:7], s[0:1], 0x30
	s_load_dwordx4 s[8:11], s[0:1], 0x0
	s_load_dwordx2 s[2:3], s[0:1], 0x10
	s_waitcnt lgkmcnt(0)
	s_add_i32 s14, s6, -1
	s_waitcnt vmcnt(1)
	v_subrev_f32_e32 v2, s4, v6
	s_waitcnt vmcnt(0)
	v_subrev_f32_e32 v3, s4, v7
	v_div_scale_f32 v4, s[0:1], s5, s5, v2
	v_div_scale_f32 v8, s[0:1], s5, s5, v3
	v_rcp_f32_e32 v9, v4
	v_rcp_f32_e32 v10, v8
	v_div_scale_f32 v5, vcc, v2, s5, v2
	v_fma_f32 v12, -v4, v9, 1.0
	v_fma_f32 v13, -v8, v10, 1.0
	v_fmac_f32_e32 v9, v12, v9
	v_div_scale_f32 v11, s[0:1], v3, s5, v3
	v_fmac_f32_e32 v10, v13, v10
	v_mul_f32_e32 v12, v5, v9
	v_mul_f32_e32 v13, v11, v10
	v_fma_f32 v14, -v4, v12, v5
	v_fma_f32 v15, -v8, v13, v11
	v_fmac_f32_e32 v12, v14, v9
	v_fmac_f32_e32 v13, v15, v10
	v_fma_f32 v4, -v4, v12, v5
	v_fma_f32 v5, -v8, v13, v11
	v_div_fmas_f32 v4, v4, v9, v12
	s_mov_b64 vcc, s[0:1]
	v_div_fixup_f32 v2, v4, s5, v2
	v_div_fmas_f32 v4, v5, v10, v13
	v_cvt_i32_f32_e32 v5, v2
	v_div_fixup_f32 v2, v4, s5, v3
	v_cvt_i32_f32_e32 v8, v2
	v_lshl_add_u64 v[2:3], s[8:9], 0, v[0:1]
	v_max_i32_e32 v4, 0, v5
	v_min_i32_e32 v4, s14, v4
	v_max_i32_e32 v5, 0, v8
	v_min_i32_e32 v5, s14, v5
	v_mad_u64_u32 v[4:5], s[0:1], v5, s6, v[4:5]
	v_ashrrev_i32_e32 v5, 31, v4
	flat_store_dword v[2:3], v4 sc0 sc1
	s_waitcnt vmcnt(0)
	v_lshl_add_u64 v[2:3], v[4:5], 2, s[12:13]
	global_load_dword v8, v[2:3], off
	s_ashr_i32 s1, s7, 31
	s_mov_b32 s0, s7
	v_lshl_add_u64 v[4:5], s[10:11], 0, v[0:1]
	v_lshl_add_u64 v[2:3], s[0:1], 2, v[2:3]
	;; [unrolled: 1-line block ×3, first 2 shown]
	s_waitcnt vmcnt(0)
	v_sub_f32_e32 v6, v6, v8
	v_div_scale_f32 v8, s[6:7], s5, s5, v6
	v_rcp_f32_e32 v9, v8
	v_div_scale_f32 v10, vcc, v6, s5, v6
	v_fma_f32 v11, -v8, v9, 1.0
	v_fmac_f32_e32 v9, v11, v9
	v_mul_f32_e32 v11, v10, v9
	v_fma_f32 v12, -v8, v11, v10
	v_fmac_f32_e32 v11, v12, v9
	v_fma_f32 v8, -v8, v11, v10
	v_div_fmas_f32 v8, v8, v9, v11
	v_div_fixup_f32 v6, v8, s5, v6
	flat_store_dword v[4:5], v6 sc0 sc1
	s_waitcnt vmcnt(0)
	global_load_dword v2, v[2:3], off
	s_waitcnt vmcnt(0)
	v_sub_f32_e32 v2, v7, v2
	v_div_scale_f32 v3, s[0:1], s5, s5, v2
	v_rcp_f32_e32 v4, v3
	v_div_scale_f32 v5, vcc, v2, s5, v2
	v_fma_f32 v6, -v3, v4, 1.0
	v_fmac_f32_e32 v4, v6, v4
	v_mul_f32_e32 v6, v5, v4
	v_fma_f32 v7, -v3, v6, v5
	v_fmac_f32_e32 v6, v7, v4
	v_fma_f32 v3, -v3, v6, v5
	v_div_fmas_f32 v3, v3, v4, v6
	v_div_fixup_f32 v2, v3, s5, v2
	flat_store_dword v[0:1], v2 sc0 sc1
	s_waitcnt vmcnt(0)
.LBB2_2:
	s_endpgm
	.section	.rodata,"a",@progbits
	.p2align	6, 0x0
	.amdhsa_kernel _Z21compute_point_box_idxPViPVfS2_PKfS4_S4_ffiii
		.amdhsa_group_segment_fixed_size 0
		.amdhsa_private_segment_fixed_size 0
		.amdhsa_kernarg_size 328
		.amdhsa_user_sgpr_count 2
		.amdhsa_user_sgpr_dispatch_ptr 0
		.amdhsa_user_sgpr_queue_ptr 0
		.amdhsa_user_sgpr_kernarg_segment_ptr 1
		.amdhsa_user_sgpr_dispatch_id 0
		.amdhsa_user_sgpr_kernarg_preload_length 0
		.amdhsa_user_sgpr_kernarg_preload_offset 0
		.amdhsa_user_sgpr_private_segment_size 0
		.amdhsa_uses_dynamic_stack 0
		.amdhsa_enable_private_segment 0
		.amdhsa_system_sgpr_workgroup_id_x 1
		.amdhsa_system_sgpr_workgroup_id_y 0
		.amdhsa_system_sgpr_workgroup_id_z 0
		.amdhsa_system_sgpr_workgroup_info 0
		.amdhsa_system_vgpr_workitem_id 0
		.amdhsa_next_free_vgpr 16
		.amdhsa_next_free_sgpr 15
		.amdhsa_accum_offset 16
		.amdhsa_reserve_vcc 1
		.amdhsa_float_round_mode_32 0
		.amdhsa_float_round_mode_16_64 0
		.amdhsa_float_denorm_mode_32 3
		.amdhsa_float_denorm_mode_16_64 3
		.amdhsa_dx10_clamp 1
		.amdhsa_ieee_mode 1
		.amdhsa_fp16_overflow 0
		.amdhsa_tg_split 0
		.amdhsa_exception_fp_ieee_invalid_op 0
		.amdhsa_exception_fp_denorm_src 0
		.amdhsa_exception_fp_ieee_div_zero 0
		.amdhsa_exception_fp_ieee_overflow 0
		.amdhsa_exception_fp_ieee_underflow 0
		.amdhsa_exception_fp_ieee_inexact 0
		.amdhsa_exception_int_div_zero 0
	.end_amdhsa_kernel
	.text
.Lfunc_end2:
	.size	_Z21compute_point_box_idxPViPVfS2_PKfS4_S4_ffiii, .Lfunc_end2-_Z21compute_point_box_idxPViPVfS2_PKfS4_S4_ffiii
                                        ; -- End function
	.set _Z21compute_point_box_idxPViPVfS2_PKfS4_S4_ffiii.num_vgpr, 16
	.set _Z21compute_point_box_idxPViPVfS2_PKfS4_S4_ffiii.num_agpr, 0
	.set _Z21compute_point_box_idxPViPVfS2_PKfS4_S4_ffiii.numbered_sgpr, 15
	.set _Z21compute_point_box_idxPViPVfS2_PKfS4_S4_ffiii.num_named_barrier, 0
	.set _Z21compute_point_box_idxPViPVfS2_PKfS4_S4_ffiii.private_seg_size, 0
	.set _Z21compute_point_box_idxPViPVfS2_PKfS4_S4_ffiii.uses_vcc, 1
	.set _Z21compute_point_box_idxPViPVfS2_PKfS4_S4_ffiii.uses_flat_scratch, 0
	.set _Z21compute_point_box_idxPViPVfS2_PKfS4_S4_ffiii.has_dyn_sized_stack, 0
	.set _Z21compute_point_box_idxPViPVfS2_PKfS4_S4_ffiii.has_recursion, 0
	.set _Z21compute_point_box_idxPViPVfS2_PKfS4_S4_ffiii.has_indirect_call, 0
	.section	.AMDGPU.csdata,"",@progbits
; Kernel info:
; codeLenInByte = 608
; TotalNumSgprs: 21
; NumVgprs: 16
; NumAgprs: 0
; TotalNumVgprs: 16
; ScratchSize: 0
; MemoryBound: 0
; FloatMode: 240
; IeeeMode: 1
; LDSByteSize: 0 bytes/workgroup (compile time only)
; SGPRBlocks: 2
; VGPRBlocks: 1
; NumSGPRsForWavesPerEU: 21
; NumVGPRsForWavesPerEU: 16
; AccumOffset: 16
; Occupancy: 8
; WaveLimiterHint : 0
; COMPUTE_PGM_RSRC2:SCRATCH_EN: 0
; COMPUTE_PGM_RSRC2:USER_SGPR: 2
; COMPUTE_PGM_RSRC2:TRAP_HANDLER: 0
; COMPUTE_PGM_RSRC2:TGID_X_EN: 1
; COMPUTE_PGM_RSRC2:TGID_Y_EN: 0
; COMPUTE_PGM_RSRC2:TGID_Z_EN: 0
; COMPUTE_PGM_RSRC2:TIDIG_COMP_CNT: 0
; COMPUTE_PGM_RSRC3_GFX90A:ACCUM_OFFSET: 3
; COMPUTE_PGM_RSRC3_GFX90A:TG_SPLIT: 0
	.text
	.protected	_Z18interpolate_devicePVfPKfS2_S2_ii ; -- Begin function _Z18interpolate_devicePVfPKfS2_S2_ii
	.globl	_Z18interpolate_devicePVfPKfS2_S2_ii
	.p2align	8
	.type	_Z18interpolate_devicePVfPKfS2_S2_ii,@function
_Z18interpolate_devicePVfPKfS2_S2_ii:   ; @_Z18interpolate_devicePVfPKfS2_S2_ii
; %bb.0:
	s_load_dword s3, s[0:1], 0x34
	s_load_dwordx2 s[8:9], s[0:1], 0x20
	s_waitcnt lgkmcnt(0)
	s_and_b32 s3, s3, 0xffff
	s_mul_i32 s2, s2, s3
	v_add_u32_e32 v0, s2, v0
	s_mul_i32 s2, s9, s8
	v_cmp_gt_i32_e32 vcc, s2, v0
	s_and_saveexec_b64 s[2:3], vcc
	s_cbranch_execz .LBB3_8
; %bb.1:
	s_abs_i32 s10, s9
	v_cvt_f32_u32_e32 v1, s10
	s_sub_i32 s11, 0, s10
	v_sub_u32_e32 v3, 0, v0
	v_max_i32_e32 v3, v0, v3
	v_rcp_iflag_f32_e32 v1, v1
	s_load_dwordx2 s[2:3], s[0:1], 0x0
	s_load_dwordx4 s[4:7], s[0:1], 0x8
	v_xor_b32_e32 v2, s9, v0
	s_load_dwordx2 s[0:1], s[0:1], 0x18
	v_mul_f32_e32 v1, 0x4f7ffffe, v1
	v_cvt_u32_f32_e32 v1, v1
	v_ashrrev_i32_e32 v2, 31, v2
	s_cmp_lt_i32 s8, 1
	v_mul_lo_u32 v4, s11, v1
	v_mul_hi_u32 v4, v1, v4
	v_add_u32_e32 v1, v1, v4
	v_mul_hi_u32 v1, v3, v1
	v_mul_lo_u32 v4, v1, s10
	v_sub_u32_e32 v3, v3, v4
	v_add_u32_e32 v5, 1, v1
	v_cmp_le_u32_e32 vcc, s10, v3
	v_subrev_u32_e32 v4, s10, v3
	s_nop 0
	v_cndmask_b32_e32 v1, v1, v5, vcc
	v_cndmask_b32_e32 v3, v3, v4, vcc
	v_add_u32_e32 v4, 1, v1
	v_cmp_le_u32_e32 vcc, s10, v3
	s_nop 1
	v_cndmask_b32_e32 v1, v1, v4, vcc
	v_xor_b32_e32 v1, v1, v2
	v_sub_u32_e32 v2, v1, v2
	s_cbranch_scc1 .LBB3_6
; %bb.2:
	v_mul_lo_u32 v1, v2, s9
	v_sub_u32_e32 v6, v0, v1
	s_waitcnt lgkmcnt(0)
	v_mov_b32_e32 v4, s4
	v_mov_b32_e32 v5, s5
	v_ashrrev_i32_e32 v7, 31, v6
	v_lshl_add_u64 v[4:5], v[6:7], 2, v[4:5]
	global_load_dword v1, v[4:5], off
	v_mov_b32_e32 v4, 1.0
	v_mov_b32_e32 v3, v2
	s_branch .LBB3_4
.LBB3_3:                                ;   in Loop: Header=BB3_4 Depth=1
	s_or_b64 exec, exec, s[4:5]
	s_add_u32 s6, s6, 4
	s_addc_u32 s7, s7, 0
	s_add_i32 s8, s8, -1
	s_cmp_lg_u32 s8, 0
	s_cbranch_scc0 .LBB3_7
.LBB3_4:                                ; =>This Inner Loop Header: Depth=1
	v_subrev_co_u32_e32 v3, vcc, 1, v3
	s_xor_b64 s[10:11], vcc, -1
	s_and_saveexec_b64 s[4:5], s[10:11]
	s_cbranch_execz .LBB3_3
; %bb.5:                                ;   in Loop: Header=BB3_4 Depth=1
	s_load_dword s9, s[6:7], 0x0
	s_waitcnt vmcnt(0) lgkmcnt(0)
	v_subrev_f32_e32 v5, s9, v1
	v_mul_f32_e32 v4, v4, v5
	s_branch .LBB3_3
.LBB3_6:
	v_mov_b32_e32 v4, 1.0
.LBB3_7:
	s_waitcnt lgkmcnt(0)
	v_mov_b32_e32 v6, s0
	v_mov_b32_e32 v7, s1
	v_ashrrev_i32_e32 v3, 31, v2
	v_lshl_add_u64 v[2:3], v[2:3], 2, v[6:7]
	global_load_dword v2, v[2:3], off
	s_waitcnt vmcnt(1)
	v_ashrrev_i32_e32 v1, 31, v0
	v_lshl_add_u64 v[0:1], v[0:1], 2, s[2:3]
	s_waitcnt vmcnt(0)
	v_div_scale_f32 v3, s[0:1], v2, v2, v4
	v_rcp_f32_e32 v5, v3
	v_div_scale_f32 v6, vcc, v4, v2, v4
	v_fma_f32 v7, -v3, v5, 1.0
	v_fmac_f32_e32 v5, v7, v5
	v_mul_f32_e32 v7, v6, v5
	v_fma_f32 v8, -v3, v7, v6
	v_fmac_f32_e32 v7, v8, v5
	v_fma_f32 v3, -v3, v7, v6
	v_div_fmas_f32 v3, v3, v5, v7
	v_div_fixup_f32 v2, v3, v2, v4
	flat_store_dword v[0:1], v2 sc0 sc1
	s_waitcnt vmcnt(0)
.LBB3_8:
	s_endpgm
	.section	.rodata,"a",@progbits
	.p2align	6, 0x0
	.amdhsa_kernel _Z18interpolate_devicePVfPKfS2_S2_ii
		.amdhsa_group_segment_fixed_size 0
		.amdhsa_private_segment_fixed_size 0
		.amdhsa_kernarg_size 296
		.amdhsa_user_sgpr_count 2
		.amdhsa_user_sgpr_dispatch_ptr 0
		.amdhsa_user_sgpr_queue_ptr 0
		.amdhsa_user_sgpr_kernarg_segment_ptr 1
		.amdhsa_user_sgpr_dispatch_id 0
		.amdhsa_user_sgpr_kernarg_preload_length 0
		.amdhsa_user_sgpr_kernarg_preload_offset 0
		.amdhsa_user_sgpr_private_segment_size 0
		.amdhsa_uses_dynamic_stack 0
		.amdhsa_enable_private_segment 0
		.amdhsa_system_sgpr_workgroup_id_x 1
		.amdhsa_system_sgpr_workgroup_id_y 0
		.amdhsa_system_sgpr_workgroup_id_z 0
		.amdhsa_system_sgpr_workgroup_info 0
		.amdhsa_system_vgpr_workitem_id 0
		.amdhsa_next_free_vgpr 9
		.amdhsa_next_free_sgpr 12
		.amdhsa_accum_offset 12
		.amdhsa_reserve_vcc 1
		.amdhsa_float_round_mode_32 0
		.amdhsa_float_round_mode_16_64 0
		.amdhsa_float_denorm_mode_32 3
		.amdhsa_float_denorm_mode_16_64 3
		.amdhsa_dx10_clamp 1
		.amdhsa_ieee_mode 1
		.amdhsa_fp16_overflow 0
		.amdhsa_tg_split 0
		.amdhsa_exception_fp_ieee_invalid_op 0
		.amdhsa_exception_fp_denorm_src 0
		.amdhsa_exception_fp_ieee_div_zero 0
		.amdhsa_exception_fp_ieee_overflow 0
		.amdhsa_exception_fp_ieee_underflow 0
		.amdhsa_exception_fp_ieee_inexact 0
		.amdhsa_exception_int_div_zero 0
	.end_amdhsa_kernel
	.text
.Lfunc_end3:
	.size	_Z18interpolate_devicePVfPKfS2_S2_ii, .Lfunc_end3-_Z18interpolate_devicePVfPKfS2_S2_ii
                                        ; -- End function
	.set _Z18interpolate_devicePVfPKfS2_S2_ii.num_vgpr, 9
	.set _Z18interpolate_devicePVfPKfS2_S2_ii.num_agpr, 0
	.set _Z18interpolate_devicePVfPKfS2_S2_ii.numbered_sgpr, 12
	.set _Z18interpolate_devicePVfPKfS2_S2_ii.num_named_barrier, 0
	.set _Z18interpolate_devicePVfPKfS2_S2_ii.private_seg_size, 0
	.set _Z18interpolate_devicePVfPKfS2_S2_ii.uses_vcc, 1
	.set _Z18interpolate_devicePVfPKfS2_S2_ii.uses_flat_scratch, 0
	.set _Z18interpolate_devicePVfPKfS2_S2_ii.has_dyn_sized_stack, 0
	.set _Z18interpolate_devicePVfPKfS2_S2_ii.has_recursion, 0
	.set _Z18interpolate_devicePVfPKfS2_S2_ii.has_indirect_call, 0
	.section	.AMDGPU.csdata,"",@progbits
; Kernel info:
; codeLenInByte = 480
; TotalNumSgprs: 18
; NumVgprs: 9
; NumAgprs: 0
; TotalNumVgprs: 9
; ScratchSize: 0
; MemoryBound: 0
; FloatMode: 240
; IeeeMode: 1
; LDSByteSize: 0 bytes/workgroup (compile time only)
; SGPRBlocks: 2
; VGPRBlocks: 1
; NumSGPRsForWavesPerEU: 18
; NumVGPRsForWavesPerEU: 9
; AccumOffset: 12
; Occupancy: 8
; WaveLimiterHint : 0
; COMPUTE_PGM_RSRC2:SCRATCH_EN: 0
; COMPUTE_PGM_RSRC2:USER_SGPR: 2
; COMPUTE_PGM_RSRC2:TRAP_HANDLER: 0
; COMPUTE_PGM_RSRC2:TGID_X_EN: 1
; COMPUTE_PGM_RSRC2:TGID_Y_EN: 0
; COMPUTE_PGM_RSRC2:TGID_Z_EN: 0
; COMPUTE_PGM_RSRC2:TIDIG_COMP_CNT: 0
; COMPUTE_PGM_RSRC3_GFX90A:ACCUM_OFFSET: 2
; COMPUTE_PGM_RSRC3_GFX90A:TG_SPLIT: 0
	.text
	.protected	_Z28compute_interpolated_indicesPfPKiPKfS3_S3_iiii ; -- Begin function _Z28compute_interpolated_indicesPfPKiPKfS3_S3_iiii
	.globl	_Z28compute_interpolated_indicesPfPKiPKfS3_S3_iiii
	.p2align	8
	.type	_Z28compute_interpolated_indicesPfPKiPKfS3_S3_iiii,@function
_Z28compute_interpolated_indicesPfPKiPKfS3_S3_iiii: ; @_Z28compute_interpolated_indicesPfPKiPKfS3_S3_iiii
; %bb.0:
	s_load_dword s3, s[0:1], 0x44
	s_load_dwordx4 s[4:7], s[0:1], 0x28
	s_waitcnt lgkmcnt(0)
	s_and_b32 s3, s3, 0xffff
	s_mul_i32 s8, s5, s4
	s_mul_i32 s2, s2, s3
	v_add_u32_e32 v2, s2, v0
	s_mul_i32 s2, s8, s5
	s_mul_i32 s2, s2, s7
	v_cmp_gt_i32_e32 vcc, s2, v2
	s_and_saveexec_b64 s[2:3], vcc
	s_cbranch_execz .LBB4_2
; %bb.1:
	s_abs_i32 s2, s7
	v_cvt_f32_u32_e32 v3, s2
	s_sub_i32 s3, 0, s2
	v_sub_u32_e32 v11, 0, v2
	v_max_i32_e32 v11, v2, v11
	v_rcp_iflag_f32_e32 v3, v3
	v_xor_b32_e32 v10, s7, v2
	v_ashrrev_i32_e32 v10, 31, v10
	s_load_dwordx8 s[8:15], s[0:1], 0x8
	v_mul_f32_e32 v3, 0x4f7ffffe, v3
	v_cvt_u32_f32_e32 v3, v3
	s_load_dwordx2 s[0:1], s[0:1], 0x0
	s_waitcnt lgkmcnt(0)
	v_mov_b32_e32 v8, s8
	v_mul_lo_u32 v12, s3, v3
	v_mul_hi_u32 v12, v3, v12
	v_add_u32_e32 v3, v3, v12
	v_mul_hi_u32 v3, v11, v3
	v_mul_lo_u32 v12, v3, s2
	v_sub_u32_e32 v11, v11, v12
	v_add_u32_e32 v12, 1, v3
	v_cmp_le_u32_e32 vcc, s2, v11
	v_mov_b32_e32 v9, s9
	v_mov_b32_e32 v6, s12
	v_cndmask_b32_e32 v3, v3, v12, vcc
	v_subrev_u32_e32 v12, s2, v11
	v_cndmask_b32_e32 v11, v11, v12, vcc
	v_cmp_le_u32_e32 vcc, s2, v11
	s_abs_i32 s2, s4
	v_cvt_f32_u32_e32 v11, s2
	v_add_u32_e32 v12, 1, v3
	v_cndmask_b32_e32 v3, v3, v12, vcc
	v_xor_b32_e32 v3, v3, v10
	v_rcp_iflag_f32_e32 v11, v11
	s_sub_i32 s3, 0, s2
	v_sub_u32_e32 v3, v3, v10
	v_sub_u32_e32 v12, 0, v3
	v_mul_f32_e32 v11, 0x4f7ffffe, v11
	v_cvt_u32_f32_e32 v11, v11
	v_max_i32_e32 v12, v3, v12
	v_mul_lo_u32 v10, v3, s7
	v_sub_u32_e32 v2, v2, v10
	v_mul_lo_u32 v13, s3, v11
	v_mul_hi_u32 v13, v11, v13
	v_add_u32_e32 v11, v11, v13
	v_mul_hi_u32 v11, v12, v11
	v_mul_lo_u32 v13, v11, s2
	v_sub_u32_e32 v12, v12, v13
	v_add_u32_e32 v13, 1, v11
	v_cmp_le_u32_e32 vcc, s2, v12
	v_xor_b32_e32 v10, s4, v3
	v_ashrrev_i32_e32 v10, 31, v10
	v_cndmask_b32_e32 v11, v11, v13, vcc
	v_subrev_u32_e32 v13, s2, v12
	v_cndmask_b32_e32 v12, v12, v13, vcc
	v_add_u32_e32 v13, 1, v11
	v_cmp_le_u32_e32 vcc, s2, v12
	s_abs_i32 s2, s5
	s_sub_i32 s3, 0, s2
	v_cndmask_b32_e32 v11, v11, v13, vcc
	v_xor_b32_e32 v11, v11, v10
	v_sub_u32_e32 v12, v11, v10
	v_cvt_f32_u32_e32 v11, s2
	v_mul_lo_u32 v10, v12, s4
	v_sub_u32_e32 v10, v3, v10
	v_sub_u32_e32 v13, 0, v12
	v_rcp_iflag_f32_e32 v11, v11
	v_max_i32_e32 v13, v12, v13
	v_xor_b32_e32 v3, s5, v12
	v_ashrrev_i32_e32 v3, 31, v3
	v_mul_f32_e32 v11, 0x4f7ffffe, v11
	v_cvt_u32_f32_e32 v14, v11
	v_ashrrev_i32_e32 v11, 31, v10
	v_lshl_add_u64 v[8:9], v[10:11], 2, v[8:9]
	global_load_dword v9, v[8:9], off
	v_mul_lo_u32 v8, s3, v14
	v_mul_hi_u32 v8, v14, v8
	v_add_u32_e32 v8, v14, v8
	v_mul_hi_u32 v8, v13, v8
	v_mul_lo_u32 v11, v8, s2
	v_sub_u32_e32 v11, v13, v11
	v_add_u32_e32 v13, 1, v8
	v_cmp_le_u32_e32 vcc, s2, v11
	v_mov_b32_e32 v7, s13
	v_mov_b32_e32 v4, s14
	v_cndmask_b32_e32 v8, v8, v13, vcc
	v_subrev_u32_e32 v13, s2, v11
	v_cndmask_b32_e32 v11, v11, v13, vcc
	v_add_u32_e32 v13, 1, v8
	v_cmp_le_u32_e32 vcc, s2, v11
	v_mov_b32_e32 v5, s15
	v_mov_b32_e32 v0, s10
	v_cndmask_b32_e32 v8, v8, v13, vcc
	v_xor_b32_e32 v8, v8, v3
	v_sub_u32_e32 v8, v8, v3
	v_mad_u64_u32 v[14:15], s[2:3], v8, s4, v[10:11]
	v_ashrrev_i32_e32 v15, 31, v14
	v_lshl_add_u64 v[6:7], v[14:15], 2, v[6:7]
	global_load_dword v11, v[6:7], off
	v_mul_lo_u32 v3, v8, s5
	v_sub_u32_e32 v12, v12, v3
	v_ashrrev_i32_e32 v3, 31, v2
	v_mov_b32_e32 v1, s11
	s_waitcnt vmcnt(0)
	v_mad_u64_u32 v[6:7], s[2:3], v12, s4, v[10:11]
	v_ashrrev_i32_e32 v7, 31, v6
	v_lshl_add_u64 v[4:5], v[6:7], 2, v[4:5]
	global_load_dword v6, v[4:5], off
	v_mad_u64_u32 v[4:5], s[2:3], v10, s7, v[2:3]
	v_ashrrev_i32_e32 v5, 31, v4
	v_lshl_add_u64 v[0:1], v[4:5], 2, v[0:1]
	global_load_dword v7, v[0:1], off
	s_abs_i32 s2, s6
	v_cvt_f32_u32_e32 v0, s2
	s_sub_i32 s3, 0, s2
	v_sub_u32_e32 v4, 0, v9
	v_max_i32_e32 v4, v9, v4
	v_rcp_iflag_f32_e32 v0, v0
	v_xor_b32_e32 v1, s6, v9
	v_ashrrev_i32_e32 v1, 31, v1
	v_mul_f32_e32 v0, 0x4f7ffffe, v0
	v_cvt_u32_f32_e32 v0, v0
	v_mul_lo_u32 v5, s3, v0
	v_mul_hi_u32 v5, v0, v5
	v_add_u32_e32 v0, v0, v5
	v_mul_hi_u32 v0, v4, v0
	v_mul_lo_u32 v5, v0, s2
	v_sub_u32_e32 v4, v4, v5
	v_add_u32_e32 v5, 1, v0
	v_cmp_le_u32_e32 vcc, s2, v4
	s_nop 1
	v_cndmask_b32_e32 v0, v0, v5, vcc
	v_subrev_u32_e32 v5, s2, v4
	v_cndmask_b32_e32 v4, v4, v5, vcc
	v_add_u32_e32 v5, 1, v0
	v_cmp_le_u32_e32 vcc, s2, v4
	s_nop 1
	v_cndmask_b32_e32 v0, v0, v5, vcc
	v_xor_b32_e32 v0, v0, v1
	v_sub_u32_e32 v0, v0, v1
	v_mul_lo_u32 v1, v0, s6
	v_sub_u32_e32 v1, v9, v1
	v_mad_u64_u32 v[4:5], s[2:3], v1, s5, v[8:9]
	v_mad_u64_u32 v[0:1], s[2:3], v4, s6, v[0:1]
	;; [unrolled: 1-line block ×3, first 2 shown]
	v_mul_lo_u32 v0, v0, s7
	v_ashrrev_i32_e32 v1, 31, v0
	v_lshl_add_u64 v[0:1], v[0:1], 2, s[0:1]
	v_lshl_add_u64 v[0:1], v[2:3], 2, v[0:1]
	s_waitcnt vmcnt(1)
	v_mul_f32_e32 v2, v11, v6
	s_waitcnt vmcnt(0)
	v_mul_f32_e32 v2, v2, v7
	global_atomic_add_f32 v[0:1], v2, off
.LBB4_2:
	s_endpgm
	.section	.rodata,"a",@progbits
	.p2align	6, 0x0
	.amdhsa_kernel _Z28compute_interpolated_indicesPfPKiPKfS3_S3_iiii
		.amdhsa_group_segment_fixed_size 0
		.amdhsa_private_segment_fixed_size 0
		.amdhsa_kernarg_size 312
		.amdhsa_user_sgpr_count 2
		.amdhsa_user_sgpr_dispatch_ptr 0
		.amdhsa_user_sgpr_queue_ptr 0
		.amdhsa_user_sgpr_kernarg_segment_ptr 1
		.amdhsa_user_sgpr_dispatch_id 0
		.amdhsa_user_sgpr_kernarg_preload_length 0
		.amdhsa_user_sgpr_kernarg_preload_offset 0
		.amdhsa_user_sgpr_private_segment_size 0
		.amdhsa_uses_dynamic_stack 0
		.amdhsa_enable_private_segment 0
		.amdhsa_system_sgpr_workgroup_id_x 1
		.amdhsa_system_sgpr_workgroup_id_y 0
		.amdhsa_system_sgpr_workgroup_id_z 0
		.amdhsa_system_sgpr_workgroup_info 0
		.amdhsa_system_vgpr_workitem_id 0
		.amdhsa_next_free_vgpr 16
		.amdhsa_next_free_sgpr 16
		.amdhsa_accum_offset 16
		.amdhsa_reserve_vcc 1
		.amdhsa_float_round_mode_32 0
		.amdhsa_float_round_mode_16_64 0
		.amdhsa_float_denorm_mode_32 3
		.amdhsa_float_denorm_mode_16_64 3
		.amdhsa_dx10_clamp 1
		.amdhsa_ieee_mode 1
		.amdhsa_fp16_overflow 0
		.amdhsa_tg_split 0
		.amdhsa_exception_fp_ieee_invalid_op 0
		.amdhsa_exception_fp_denorm_src 0
		.amdhsa_exception_fp_ieee_div_zero 0
		.amdhsa_exception_fp_ieee_overflow 0
		.amdhsa_exception_fp_ieee_underflow 0
		.amdhsa_exception_fp_ieee_inexact 0
		.amdhsa_exception_int_div_zero 0
	.end_amdhsa_kernel
	.text
.Lfunc_end4:
	.size	_Z28compute_interpolated_indicesPfPKiPKfS3_S3_iiii, .Lfunc_end4-_Z28compute_interpolated_indicesPfPKiPKfS3_S3_iiii
                                        ; -- End function
	.set _Z28compute_interpolated_indicesPfPKiPKfS3_S3_iiii.num_vgpr, 16
	.set _Z28compute_interpolated_indicesPfPKiPKfS3_S3_iiii.num_agpr, 0
	.set _Z28compute_interpolated_indicesPfPKiPKfS3_S3_iiii.numbered_sgpr, 16
	.set _Z28compute_interpolated_indicesPfPKiPKfS3_S3_iiii.num_named_barrier, 0
	.set _Z28compute_interpolated_indicesPfPKiPKfS3_S3_iiii.private_seg_size, 0
	.set _Z28compute_interpolated_indicesPfPKiPKfS3_S3_iiii.uses_vcc, 1
	.set _Z28compute_interpolated_indicesPfPKiPKfS3_S3_iiii.uses_flat_scratch, 0
	.set _Z28compute_interpolated_indicesPfPKiPKfS3_S3_iiii.has_dyn_sized_stack, 0
	.set _Z28compute_interpolated_indicesPfPKiPKfS3_S3_iiii.has_recursion, 0
	.set _Z28compute_interpolated_indicesPfPKiPKfS3_S3_iiii.has_indirect_call, 0
	.section	.AMDGPU.csdata,"",@progbits
; Kernel info:
; codeLenInByte = 856
; TotalNumSgprs: 22
; NumVgprs: 16
; NumAgprs: 0
; TotalNumVgprs: 16
; ScratchSize: 0
; MemoryBound: 0
; FloatMode: 240
; IeeeMode: 1
; LDSByteSize: 0 bytes/workgroup (compile time only)
; SGPRBlocks: 2
; VGPRBlocks: 1
; NumSGPRsForWavesPerEU: 22
; NumVGPRsForWavesPerEU: 16
; AccumOffset: 16
; Occupancy: 8
; WaveLimiterHint : 1
; COMPUTE_PGM_RSRC2:SCRATCH_EN: 0
; COMPUTE_PGM_RSRC2:USER_SGPR: 2
; COMPUTE_PGM_RSRC2:TRAP_HANDLER: 0
; COMPUTE_PGM_RSRC2:TGID_X_EN: 1
; COMPUTE_PGM_RSRC2:TGID_Y_EN: 0
; COMPUTE_PGM_RSRC2:TGID_Z_EN: 0
; COMPUTE_PGM_RSRC2:TIDIG_COMP_CNT: 0
; COMPUTE_PGM_RSRC3_GFX90A:ACCUM_OFFSET: 3
; COMPUTE_PGM_RSRC3_GFX90A:TG_SPLIT: 0
	.text
	.protected	_Z25compute_potential_indicesPfPKiPKfS3_S3_iiii ; -- Begin function _Z25compute_potential_indicesPfPKiPKfS3_S3_iiii
	.globl	_Z25compute_potential_indicesPfPKiPKfS3_S3_iiii
	.p2align	8
	.type	_Z25compute_potential_indicesPfPKiPKfS3_S3_iiii,@function
_Z25compute_potential_indicesPfPKiPKfS3_S3_iiii: ; @_Z25compute_potential_indicesPfPKiPKfS3_S3_iiii
; %bb.0:
	s_load_dword s3, s[0:1], 0x44
	s_load_dwordx4 s[12:15], s[0:1], 0x28
	s_waitcnt lgkmcnt(0)
	s_and_b32 s3, s3, 0xffff
	s_mul_i32 s4, s13, s12
	s_mul_i32 s2, s2, s3
	v_add_u32_e32 v2, s2, v0
	s_mul_i32 s2, s4, s13
	s_mul_i32 s2, s2, s15
	v_cmp_gt_i32_e32 vcc, s2, v2
	s_and_saveexec_b64 s[2:3], vcc
	s_cbranch_execz .LBB5_2
; %bb.1:
	s_abs_i32 s2, s15
	v_cvt_f32_u32_e32 v0, s2
	s_sub_i32 s3, 0, s2
	v_sub_u32_e32 v3, 0, v2
	v_max_i32_e32 v3, v2, v3
	v_rcp_iflag_f32_e32 v0, v0
	v_xor_b32_e32 v1, s15, v2
	v_ashrrev_i32_e32 v1, 31, v1
	s_load_dwordx8 s[4:11], s[0:1], 0x8
	v_mul_f32_e32 v0, 0x4f7ffffe, v0
	v_cvt_u32_f32_e32 v0, v0
	s_load_dwordx2 s[0:1], s[0:1], 0x0
	s_waitcnt lgkmcnt(0)
	v_mov_b32_e32 v4, s4
	v_mul_lo_u32 v6, s3, v0
	v_mul_hi_u32 v6, v0, v6
	v_add_u32_e32 v0, v0, v6
	v_mul_hi_u32 v0, v3, v0
	v_mul_lo_u32 v6, v0, s2
	v_sub_u32_e32 v3, v3, v6
	v_add_u32_e32 v7, 1, v0
	v_cmp_le_u32_e32 vcc, s2, v3
	s_abs_i32 s3, s12
	v_subrev_u32_e32 v6, s2, v3
	v_cndmask_b32_e32 v0, v0, v7, vcc
	v_cvt_f32_u32_e32 v7, s3
	v_cndmask_b32_e32 v3, v3, v6, vcc
	v_cmp_le_u32_e32 vcc, s2, v3
	v_add_u32_e32 v6, 1, v0
	v_rcp_iflag_f32_e32 v3, v7
	v_cndmask_b32_e32 v0, v0, v6, vcc
	v_xor_b32_e32 v0, v0, v1
	v_sub_u32_e32 v10, v0, v1
	v_mul_f32_e32 v1, 0x4f7ffffe, v3
	v_cvt_u32_f32_e32 v1, v1
	s_sub_i32 s2, 0, s3
	v_sub_u32_e32 v3, 0, v10
	v_max_i32_e32 v3, v10, v3
	v_mul_lo_u32 v6, s2, v1
	v_mul_hi_u32 v6, v1, v6
	v_add_u32_e32 v1, v1, v6
	v_mul_hi_u32 v1, v3, v1
	v_mul_lo_u32 v6, v1, s3
	v_sub_u32_e32 v3, v3, v6
	v_add_u32_e32 v6, 1, v1
	v_cmp_le_u32_e32 vcc, s3, v3
	v_xor_b32_e32 v0, s12, v10
	v_ashrrev_i32_e32 v0, 31, v0
	v_cndmask_b32_e32 v1, v1, v6, vcc
	v_subrev_u32_e32 v6, s3, v3
	v_cndmask_b32_e32 v3, v3, v6, vcc
	v_add_u32_e32 v6, 1, v1
	v_cmp_le_u32_e32 vcc, s3, v3
	v_mov_b32_e32 v5, s5
	s_abs_i32 s4, s14
	v_cndmask_b32_e32 v1, v1, v6, vcc
	v_xor_b32_e32 v1, v1, v0
	v_sub_u32_e32 v11, v1, v0
	v_mul_lo_u32 v0, v11, s12
	v_sub_u32_e32 v0, v10, v0
	v_ashrrev_i32_e32 v1, 31, v0
	v_lshl_add_u64 v[4:5], v[0:1], 2, v[4:5]
	global_load_dword v1, v[4:5], off
	s_abs_i32 s2, s13
	v_cvt_f32_u32_e32 v6, s4
	v_cvt_f32_u32_e32 v3, s2
	s_sub_i32 s5, 0, s4
	s_sub_i32 s3, 0, s2
	v_rcp_iflag_f32_e32 v8, v6
	v_rcp_iflag_f32_e32 v3, v3
	v_mov_b32_e32 v6, s8
	v_mov_b32_e32 v7, s9
	v_mul_f32_e32 v8, 0x4f7ffffe, v8
	v_mul_f32_e32 v3, 0x4f7ffffe, v3
	v_cvt_u32_f32_e32 v12, v8
	v_cvt_u32_f32_e32 v3, v3
	v_mov_b32_e32 v8, s10
	v_mov_b32_e32 v9, s11
	v_mul_lo_u32 v14, s5, v12
	v_mul_lo_u32 v13, s3, v3
	v_mul_hi_u32 v14, v12, v14
	v_mul_hi_u32 v13, v3, v13
	v_add_u32_e32 v15, v12, v14
	v_sub_u32_e32 v12, 0, v11
	v_add_u32_e32 v13, v3, v13
	v_max_i32_e32 v12, v11, v12
	v_mul_hi_u32 v13, v12, v13
	v_mul_lo_u32 v14, v13, s2
	v_sub_u32_e32 v12, v12, v14
	v_add_u32_e32 v16, 1, v13
	v_cmp_le_u32_e32 vcc, s2, v12
	v_subrev_u32_e32 v14, s2, v12
	v_mul_lo_u32 v3, v10, s15
	v_cndmask_b32_e32 v13, v13, v16, vcc
	v_cndmask_b32_e32 v12, v12, v14, vcc
	v_xor_b32_e32 v10, s13, v11
	v_add_u32_e32 v14, 1, v13
	v_cmp_le_u32_e32 vcc, s2, v12
	v_ashrrev_i32_e32 v10, 31, v10
	v_sub_u32_e32 v2, v2, v3
	v_cndmask_b32_e32 v12, v13, v14, vcc
	v_xor_b32_e32 v12, v12, v10
	v_sub_u32_e32 v10, v12, v10
	v_mul_lo_u32 v14, v10, s13
	v_sub_u32_e32 v14, v11, v14
	v_ashrrev_i32_e32 v3, 31, v2
	v_mov_b32_e32 v4, s6
	v_mov_b32_e32 v5, s7
	s_waitcnt vmcnt(0)
	v_sub_u32_e32 v16, 0, v1
	v_max_i32_e32 v16, v1, v16
	v_mul_hi_u32 v15, v16, v15
	v_mul_lo_u32 v17, v15, s4
	v_sub_u32_e32 v16, v16, v17
	v_add_u32_e32 v18, 1, v15
	v_cmp_le_u32_e32 vcc, s4, v16
	v_subrev_u32_e32 v17, s4, v16
	v_xor_b32_e32 v11, s14, v1
	v_cndmask_b32_e32 v15, v15, v18, vcc
	v_cndmask_b32_e32 v16, v16, v17, vcc
	v_add_u32_e32 v17, 1, v15
	v_cmp_le_u32_e32 vcc, s4, v16
	v_ashrrev_i32_e32 v11, 31, v11
	v_mad_u64_u32 v[12:13], s[2:3], v10, s12, v[0:1]
	v_cndmask_b32_e32 v15, v15, v17, vcc
	v_xor_b32_e32 v15, v15, v11
	v_sub_u32_e32 v16, v15, v11
	v_mul_lo_u32 v11, v16, s14
	v_sub_u32_e32 v1, v1, v11
	v_mad_u64_u32 v[10:11], s[2:3], v1, s13, v[10:11]
	v_ashrrev_i32_e32 v13, 31, v12
	v_mad_u64_u32 v[10:11], s[2:3], v10, s14, v[16:17]
	v_mad_u64_u32 v[10:11], s[2:3], v10, s13, v[14:15]
	v_lshl_add_u64 v[6:7], v[12:13], 2, v[6:7]
	global_load_dword v11, v[6:7], off
	v_mad_u64_u32 v[6:7], s[2:3], v14, s12, v[0:1]
	v_ashrrev_i32_e32 v7, 31, v6
	v_lshl_add_u64 v[6:7], v[6:7], 2, v[8:9]
	global_load_dword v8, v[6:7], off
	v_mad_u64_u32 v[6:7], s[2:3], v10, s15, v[2:3]
	v_ashrrev_i32_e32 v7, 31, v6
	v_lshl_add_u64 v[4:5], v[6:7], 2, v[4:5]
	global_load_dword v4, v[4:5], off
	v_mul_lo_u32 v0, v0, s15
	v_ashrrev_i32_e32 v1, 31, v0
	v_lshl_add_u64 v[0:1], v[0:1], 2, s[0:1]
	v_lshl_add_u64 v[0:1], v[2:3], 2, v[0:1]
	s_waitcnt vmcnt(1)
	v_mul_f32_e32 v2, v11, v8
	s_waitcnt vmcnt(0)
	v_mul_f32_e32 v2, v2, v4
	global_atomic_add_f32 v[0:1], v2, off
.LBB5_2:
	s_endpgm
	.section	.rodata,"a",@progbits
	.p2align	6, 0x0
	.amdhsa_kernel _Z25compute_potential_indicesPfPKiPKfS3_S3_iiii
		.amdhsa_group_segment_fixed_size 0
		.amdhsa_private_segment_fixed_size 0
		.amdhsa_kernarg_size 312
		.amdhsa_user_sgpr_count 2
		.amdhsa_user_sgpr_dispatch_ptr 0
		.amdhsa_user_sgpr_queue_ptr 0
		.amdhsa_user_sgpr_kernarg_segment_ptr 1
		.amdhsa_user_sgpr_dispatch_id 0
		.amdhsa_user_sgpr_kernarg_preload_length 0
		.amdhsa_user_sgpr_kernarg_preload_offset 0
		.amdhsa_user_sgpr_private_segment_size 0
		.amdhsa_uses_dynamic_stack 0
		.amdhsa_enable_private_segment 0
		.amdhsa_system_sgpr_workgroup_id_x 1
		.amdhsa_system_sgpr_workgroup_id_y 0
		.amdhsa_system_sgpr_workgroup_id_z 0
		.amdhsa_system_sgpr_workgroup_info 0
		.amdhsa_system_vgpr_workitem_id 0
		.amdhsa_next_free_vgpr 19
		.amdhsa_next_free_sgpr 16
		.amdhsa_accum_offset 20
		.amdhsa_reserve_vcc 1
		.amdhsa_float_round_mode_32 0
		.amdhsa_float_round_mode_16_64 0
		.amdhsa_float_denorm_mode_32 3
		.amdhsa_float_denorm_mode_16_64 3
		.amdhsa_dx10_clamp 1
		.amdhsa_ieee_mode 1
		.amdhsa_fp16_overflow 0
		.amdhsa_tg_split 0
		.amdhsa_exception_fp_ieee_invalid_op 0
		.amdhsa_exception_fp_denorm_src 0
		.amdhsa_exception_fp_ieee_div_zero 0
		.amdhsa_exception_fp_ieee_overflow 0
		.amdhsa_exception_fp_ieee_underflow 0
		.amdhsa_exception_fp_ieee_inexact 0
		.amdhsa_exception_int_div_zero 0
	.end_amdhsa_kernel
	.text
.Lfunc_end5:
	.size	_Z25compute_potential_indicesPfPKiPKfS3_S3_iiii, .Lfunc_end5-_Z25compute_potential_indicesPfPKiPKfS3_S3_iiii
                                        ; -- End function
	.set _Z25compute_potential_indicesPfPKiPKfS3_S3_iiii.num_vgpr, 19
	.set _Z25compute_potential_indicesPfPKiPKfS3_S3_iiii.num_agpr, 0
	.set _Z25compute_potential_indicesPfPKiPKfS3_S3_iiii.numbered_sgpr, 16
	.set _Z25compute_potential_indicesPfPKiPKfS3_S3_iiii.num_named_barrier, 0
	.set _Z25compute_potential_indicesPfPKiPKfS3_S3_iiii.private_seg_size, 0
	.set _Z25compute_potential_indicesPfPKiPKfS3_S3_iiii.uses_vcc, 1
	.set _Z25compute_potential_indicesPfPKiPKfS3_S3_iiii.uses_flat_scratch, 0
	.set _Z25compute_potential_indicesPfPKiPKfS3_S3_iiii.has_dyn_sized_stack, 0
	.set _Z25compute_potential_indicesPfPKiPKfS3_S3_iiii.has_recursion, 0
	.set _Z25compute_potential_indicesPfPKiPKfS3_S3_iiii.has_indirect_call, 0
	.section	.AMDGPU.csdata,"",@progbits
; Kernel info:
; codeLenInByte = 848
; TotalNumSgprs: 22
; NumVgprs: 19
; NumAgprs: 0
; TotalNumVgprs: 19
; ScratchSize: 0
; MemoryBound: 0
; FloatMode: 240
; IeeeMode: 1
; LDSByteSize: 0 bytes/workgroup (compile time only)
; SGPRBlocks: 2
; VGPRBlocks: 2
; NumSGPRsForWavesPerEU: 22
; NumVGPRsForWavesPerEU: 19
; AccumOffset: 20
; Occupancy: 8
; WaveLimiterHint : 1
; COMPUTE_PGM_RSRC2:SCRATCH_EN: 0
; COMPUTE_PGM_RSRC2:USER_SGPR: 2
; COMPUTE_PGM_RSRC2:TRAP_HANDLER: 0
; COMPUTE_PGM_RSRC2:TGID_X_EN: 1
; COMPUTE_PGM_RSRC2:TGID_Y_EN: 0
; COMPUTE_PGM_RSRC2:TGID_Z_EN: 0
; COMPUTE_PGM_RSRC2:TIDIG_COMP_CNT: 0
; COMPUTE_PGM_RSRC3_GFX90A:ACCUM_OFFSET: 4
; COMPUTE_PGM_RSRC3_GFX90A:TG_SPLIT: 0
	.text
	.protected	_Z20compute_kernel_tildePVffffii ; -- Begin function _Z20compute_kernel_tildePVffffii
	.globl	_Z20compute_kernel_tildePVffffii
	.p2align	8
	.type	_Z20compute_kernel_tildePVffffii,@function
_Z20compute_kernel_tildePVffffii:       ; @_Z20compute_kernel_tildePVffffii
; %bb.0:
	s_load_dword s3, s[0:1], 0x2c
	s_load_dwordx4 s[4:7], s[0:1], 0x8
	s_waitcnt lgkmcnt(0)
	s_and_b32 s3, s3, 0xffff
	s_mul_i32 s2, s2, s3
	v_add_u32_e32 v0, s2, v0
	s_mul_i32 s2, s7, s7
	v_cmp_gt_i32_e32 vcc, s2, v0
	s_and_saveexec_b64 s[2:3], vcc
	s_cbranch_execz .LBB6_2
; %bb.1:
	s_abs_i32 s2, s7
	v_cvt_f32_u32_e32 v1, s2
	s_sub_i32 s3, 0, s2
	v_sub_u32_e32 v3, 0, v0
	v_max_i32_e32 v3, v0, v3
	v_rcp_iflag_f32_e32 v1, v1
	v_xor_b32_e32 v2, s7, v0
	v_ashrrev_i32_e32 v2, 31, v2
	s_load_dwordx2 s[8:9], s[0:1], 0x0
	s_load_dword s10, s[0:1], 0x18
	v_mul_f32_e32 v1, 0x4f7ffffe, v1
	v_cvt_u32_f32_e32 v1, v1
	s_mov_b32 s0, 0x3f2aaaab
	s_mov_b32 s1, 0x42b17218
	v_mul_lo_u32 v4, s3, v1
	v_mul_hi_u32 v4, v1, v4
	v_add_u32_e32 v1, v1, v4
	v_mul_hi_u32 v1, v3, v1
	v_mul_lo_u32 v4, v1, s2
	v_sub_u32_e32 v3, v3, v4
	v_add_u32_e32 v5, 1, v1
	v_cmp_le_u32_e32 vcc, s2, v3
	v_subrev_u32_e32 v4, s2, v3
	s_mov_b32 s3, 0x3fb8aa3b
	v_cndmask_b32_e32 v1, v1, v5, vcc
	v_cndmask_b32_e32 v3, v3, v4, vcc
	v_add_u32_e32 v4, 1, v1
	v_cmp_le_u32_e32 vcc, s2, v3
	s_movk_i32 s2, 0x204
	s_nop 0
	v_cndmask_b32_e32 v1, v1, v4, vcc
	v_xor_b32_e32 v1, v1, v2
	v_sub_u32_e32 v1, v1, v2
	v_mul_lo_u32 v2, v1, s7
	v_sub_u32_e32 v0, v0, v2
	v_cvt_f32_i32_e32 v2, v1
	v_cvt_f32_i32_e32 v3, v0
	v_mul_f32_e64 v4, s6, 0.5
	v_pk_add_f32 v[4:5], s[4:5], v[4:5] op_sel:[1,0] op_sel_hi:[0,0]
	v_pk_fma_f32 v[2:3], s[6:7], v[2:3], v[4:5] op_sel_hi:[0,1,1]
	v_pk_add_f32 v[2:3], v[4:5], v[2:3] neg_lo:[0,1] neg_hi:[0,1]
	s_brev_b32 s6, -2
	v_pk_mul_f32 v[2:3], v[2:3], v[2:3]
	s_nop 0
	v_add_f32_e32 v2, 1.0, v2
	v_add_f32_e32 v16, v2, v3
	v_cmp_eq_f32_e32 vcc, 1.0, v16
	v_frexp_mant_f32_e64 v2, |v16|
	v_cmp_class_f32_e64 s[4:5], v16, s2
	v_cndmask_b32_e64 v17, -2.0, 1.0, vcc
	v_cmp_gt_f32_e32 vcc, s0, v2
	s_mov_b32 s0, 0x3f317218
	s_nop 0
	v_cndmask_b32_e64 v3, 1.0, 2.0, vcc
	v_mul_f32_e32 v2, v2, v3
	v_add_f32_e32 v5, 1.0, v2
	v_rcp_f32_e32 v10, v5
	v_add_f32_e32 v3, -1.0, v5
	v_sub_f32_e32 v7, v2, v3
	v_add_f32_e32 v3, -1.0, v2
	v_mul_f32_e32 v11, v3, v10
	v_mul_f32_e32 v4, v5, v11
	v_fma_f32 v6, v11, v5, -v4
	v_fmac_f32_e32 v6, v11, v7
	v_add_f32_e32 v2, v4, v6
	v_sub_f32_e32 v5, v3, v2
	v_pk_add_f32 v[8:9], v[2:3], v[4:5] neg_lo:[0,1] neg_hi:[0,1]
	v_mov_b32_e32 v7, v2
	v_pk_add_f32 v[2:3], v[8:9], v[6:7] neg_lo:[0,1] neg_hi:[0,1]
	v_mov_b32_e32 v6, 0x3e91f4c4
	v_add_f32_e32 v2, v2, v3
	v_add_f32_e32 v2, v5, v2
	v_mul_f32_e32 v3, v10, v2
	v_add_f32_e32 v2, v11, v3
	v_sub_f32_e32 v4, v2, v11
	v_sub_f32_e32 v12, v3, v4
	v_mul_f32_e32 v3, v2, v2
	v_fma_f32 v5, v2, v2, -v3
	v_add_f32_e32 v4, v12, v12
	v_fmac_f32_e32 v5, v2, v4
	v_add_f32_e32 v4, v3, v5
	v_fmac_f32_e32 v6, 0x3e76c4e1, v4
	v_fmaak_f32 v6, v4, v6, 0x3ecccdef
	v_sub_f32_e32 v3, v4, v3
	v_sub_f32_e32 v13, v5, v3
	v_mul_f32_e32 v3, v4, v6
	v_fma_f32 v5, v4, v6, -v3
	v_fmac_f32_e32 v5, v13, v6
	v_add_f32_e32 v6, v3, v5
	v_add_f32_e32 v7, 0x3f2aaaaa, v6
	v_sub_f32_e32 v3, v6, v3
	v_sub_f32_e32 v3, v5, v3
	v_add_f32_e32 v5, 0xbf2aaaaa, v7
	v_add_f32_e32 v3, 0x31739010, v3
	v_sub_f32_e32 v5, v6, v5
	v_pk_mul_f32 v[8:9], v[2:3], v[4:5]
	v_pk_add_f32 v[10:11], v[2:3], v[4:5]
	v_fma_f32 v6, v4, v2, -v8
	v_fmac_f32_e32 v6, v4, v12
	v_mov_b32_e32 v9, v11
	v_fmac_f32_e32 v6, v13, v2
	v_pk_add_f32 v[4:5], v[8:9], v[6:7]
	v_ldexp_f32 v14, v12, 1
	v_sub_f32_e32 v3, v4, v8
	v_sub_f32_e32 v3, v6, v3
	;; [unrolled: 1-line block ×3, first 2 shown]
	v_add_f32_e32 v9, v11, v6
	v_pk_mul_f32 v[6:7], v[4:5], v[4:5] op_sel:[0,1] op_sel_hi:[1,0]
	v_cvt_f64_f32_e64 v[10:11], |v16|
	v_frexp_exp_i32_f64_e32 v7, v[10:11]
	v_subbrev_co_u32_e32 v7, vcc, 0, v7, vcc
	v_cvt_f32_i32_e32 v7, v7
	v_fma_f32 v8, v4, v5, -v6
	v_fmac_f32_e32 v8, v4, v9
	v_fmac_f32_e32 v8, v3, v5
	v_mul_f32_e32 v4, 0x3f317218, v7
	v_fma_f32 v3, v7, s0, -v4
	v_fmamk_f32 v10, v7, 0xb102e308, v3
	v_ldexp_f32 v11, v2, 1
	v_add_f32_e32 v5, v6, v8
	v_pk_add_f32 v[2:3], v[4:5], v[10:11]
	v_mov_b32_e32 v12, v5
	v_mov_b32_e32 v13, v3
	;; [unrolled: 1-line block ×3, first 2 shown]
	v_pk_add_f32 v[6:7], v[12:13], v[6:7] neg_lo:[0,1] neg_hi:[0,1]
	v_mov_b32_e32 v9, v5
	v_pk_add_f32 v[6:7], v[8:9], v[6:7] neg_lo:[0,1] neg_hi:[0,1]
	v_mov_b32_e32 v11, v2
	v_add_f32_e32 v5, v14, v6
	v_add_f32_e32 v5, v5, v7
	v_pk_add_f32 v[6:7], v[2:3], v[4:5] neg_lo:[0,1] neg_hi:[0,1]
	v_pk_add_f32 v[8:9], v[2:3], v[4:5]
	v_mov_b32_e32 v4, v5
	v_mov_b32_e32 v7, v9
	v_pk_add_f32 v[12:13], v[10:11], v[6:7] neg_lo:[0,1] neg_hi:[0,1]
	v_pk_add_f32 v[6:7], v[10:11], v[6:7]
	v_mov_b32_e32 v5, v2
	v_pk_add_f32 v[10:11], v[6:7], v[2:3] op_sel:[1,0] op_sel_hi:[0,1] neg_lo:[0,1] neg_hi:[0,1]
	v_pk_add_f32 v[14:15], v[8:9], v[10:11] op_sel_hi:[1,0] neg_lo:[0,1] neg_hi:[0,1]
	v_mov_b32_e32 v8, v9
	v_mov_b32_e32 v9, v7
	v_pk_mov_b32 v[10:11], v[2:3], v[10:11] op_sel:[1,0]
	v_mov_b32_e32 v14, v12
	v_pk_add_f32 v[8:9], v[8:9], v[10:11] neg_lo:[0,1] neg_hi:[0,1]
	v_mov_b32_e32 v13, v7
	v_pk_add_f32 v[2:3], v[4:5], v[8:9] neg_lo:[0,1] neg_hi:[0,1]
	s_mov_b32 s0, 0x7f800000
	v_pk_add_f32 v[4:5], v[14:15], v[2:3]
	s_nop 0
	v_pk_add_f32 v[8:9], v[4:5], v[4:5] op_sel:[0,1] op_sel_hi:[1,0]
	s_nop 0
	v_pk_add_f32 v[6:7], v[6:7], v[8:9] op_sel:[1,0] op_sel_hi:[0,1]
	v_mov_b32_e32 v5, v6
	v_pk_add_f32 v[10:11], v[4:5], v[12:13] neg_lo:[0,1] neg_hi:[0,1]
	v_mov_b32_e32 v3, v8
	v_sub_f32_e32 v4, v4, v10
	v_pk_add_f32 v[2:3], v[2:3], v[10:11] neg_lo:[0,1] neg_hi:[0,1]
	v_sub_f32_e32 v4, v12, v4
	v_add_f32_e32 v2, v2, v4
	v_add_f32_e32 v2, v2, v3
	;; [unrolled: 1-line block ×3, first 2 shown]
	v_sub_f32_e32 v4, v3, v6
	v_sub_f32_e32 v2, v2, v4
	v_mul_f32_e32 v4, v17, v3
	v_fma_f32 v3, v17, v3, -v4
	v_fmac_f32_e32 v3, v17, v2
	v_add_f32_e32 v2, v4, v3
	v_cmp_class_f32_e64 vcc, v4, s2
	v_sub_f32_e32 v5, v2, v4
	v_sub_f32_e32 v3, v3, v5
	v_cndmask_b32_e32 v2, v2, v4, vcc
	v_mov_b32_e32 v4, 0x37000000
	v_cmp_eq_f32_e32 vcc, s1, v2
	s_nop 1
	v_cndmask_b32_e32 v4, 0, v4, vcc
	v_sub_f32_e32 v5, v2, v4
	v_mul_f32_e32 v6, 0x3fb8aa3b, v5
	v_fma_f32 v7, v5, s3, -v6
	v_rndne_f32_e32 v8, v6
	v_fmamk_f32 v7, v5, 0x32a5705f, v7
	v_sub_f32_e32 v6, v6, v8
	v_add_f32_e32 v6, v6, v7
	v_exp_f32_e32 v6, v6
	v_cvt_i32_f32_e32 v7, v8
	v_cmp_neq_f32_e64 vcc, |v2|, s0
	s_mov_b32 s0, 0xc2ce8ed0
	s_nop 0
	v_cndmask_b32_e32 v2, 0, v3, vcc
	v_ldexp_f32 v3, v6, v7
	v_cmp_ngt_f32_e32 vcc, s0, v5
	v_add_f32_e32 v2, v4, v2
	v_mov_b32_e32 v4, 0x7f800000
	v_cndmask_b32_e32 v3, 0, v3, vcc
	v_cmp_nlt_f32_e32 vcc, s1, v5
	v_add_u32_e32 v6, s7, v0
	s_nop 0
	v_cndmask_b32_e32 v3, v4, v3, vcc
	v_fma_f32 v2, v3, v2, v3
	v_cmp_class_f32_e64 vcc, v3, s2
	v_cmp_gt_f32_e64 s[2:3], 0, v17
	s_nop 0
	v_cndmask_b32_e32 v2, v2, v3, vcc
	v_trunc_f32_e32 v3, v17
	v_cmp_eq_f32_e32 vcc, v3, v17
	v_mul_f32_e32 v3, 0.5, v17
	v_trunc_f32_e32 v5, v3
	v_cmp_neq_f32_e64 s[0:1], v5, v3
	s_and_b64 vcc, vcc, s[0:1]
	v_cmp_eq_f32_e64 s[0:1], 0, v16
	v_cndmask_b32_e32 v3, 1.0, v16, vcc
	s_xor_b64 s[2:3], s[0:1], s[2:3]
	v_bfi_b32 v2, s6, v2, v3
	v_cndmask_b32_e64 v3, v4, 0, s[2:3]
	v_cndmask_b32_e32 v4, 0, v16, vcc
	v_bfi_b32 v3, s6, v3, v4
	s_or_b64 vcc, s[0:1], s[4:5]
	v_cndmask_b32_e32 v2, v2, v3, vcc
	v_mov_b32_e32 v3, 0x7fc00000
	v_cmp_o_f32_e32 vcc, v16, v16
	s_nop 1
	v_cndmask_b32_e32 v4, v3, v2, vcc
	v_add_u32_e32 v2, s7, v1
	s_waitcnt lgkmcnt(0)
	v_mul_lo_u32 v5, v2, s10
	v_add_u32_e32 v2, v5, v6
	v_ashrrev_i32_e32 v3, 31, v2
	v_sub_u32_e32 v1, s7, v1
	v_lshl_add_u64 v[2:3], v[2:3], 2, s[8:9]
	v_mul_lo_u32 v7, v1, s10
	flat_store_dword v[2:3], v4 sc0 sc1
	s_waitcnt vmcnt(0)
	v_add_u32_e32 v2, v7, v6
	v_ashrrev_i32_e32 v3, 31, v2
	v_lshl_add_u64 v[2:3], v[2:3], 2, s[8:9]
	flat_store_dword v[2:3], v4 sc0 sc1
	s_waitcnt vmcnt(0)
	v_sub_u32_e32 v2, s7, v0
	v_add_u32_e32 v0, v5, v2
	v_ashrrev_i32_e32 v1, 31, v0
	v_lshl_add_u64 v[0:1], v[0:1], 2, s[8:9]
	flat_store_dword v[0:1], v4 sc0 sc1
	s_waitcnt vmcnt(0)
	v_add_u32_e32 v0, v7, v2
	v_ashrrev_i32_e32 v1, 31, v0
	v_lshl_add_u64 v[0:1], v[0:1], 2, s[8:9]
	flat_store_dword v[0:1], v4 sc0 sc1
	s_waitcnt vmcnt(0)
.LBB6_2:
	s_endpgm
	.section	.rodata,"a",@progbits
	.p2align	6, 0x0
	.amdhsa_kernel _Z20compute_kernel_tildePVffffii
		.amdhsa_group_segment_fixed_size 0
		.amdhsa_private_segment_fixed_size 0
		.amdhsa_kernarg_size 288
		.amdhsa_user_sgpr_count 2
		.amdhsa_user_sgpr_dispatch_ptr 0
		.amdhsa_user_sgpr_queue_ptr 0
		.amdhsa_user_sgpr_kernarg_segment_ptr 1
		.amdhsa_user_sgpr_dispatch_id 0
		.amdhsa_user_sgpr_kernarg_preload_length 0
		.amdhsa_user_sgpr_kernarg_preload_offset 0
		.amdhsa_user_sgpr_private_segment_size 0
		.amdhsa_uses_dynamic_stack 0
		.amdhsa_enable_private_segment 0
		.amdhsa_system_sgpr_workgroup_id_x 1
		.amdhsa_system_sgpr_workgroup_id_y 0
		.amdhsa_system_sgpr_workgroup_id_z 0
		.amdhsa_system_sgpr_workgroup_info 0
		.amdhsa_system_vgpr_workitem_id 0
		.amdhsa_next_free_vgpr 18
		.amdhsa_next_free_sgpr 11
		.amdhsa_accum_offset 20
		.amdhsa_reserve_vcc 1
		.amdhsa_float_round_mode_32 0
		.amdhsa_float_round_mode_16_64 0
		.amdhsa_float_denorm_mode_32 3
		.amdhsa_float_denorm_mode_16_64 3
		.amdhsa_dx10_clamp 1
		.amdhsa_ieee_mode 1
		.amdhsa_fp16_overflow 0
		.amdhsa_tg_split 0
		.amdhsa_exception_fp_ieee_invalid_op 0
		.amdhsa_exception_fp_denorm_src 0
		.amdhsa_exception_fp_ieee_div_zero 0
		.amdhsa_exception_fp_ieee_overflow 0
		.amdhsa_exception_fp_ieee_underflow 0
		.amdhsa_exception_fp_ieee_inexact 0
		.amdhsa_exception_int_div_zero 0
	.end_amdhsa_kernel
	.text
.Lfunc_end6:
	.size	_Z20compute_kernel_tildePVffffii, .Lfunc_end6-_Z20compute_kernel_tildePVffffii
                                        ; -- End function
	.set _Z20compute_kernel_tildePVffffii.num_vgpr, 18
	.set _Z20compute_kernel_tildePVffffii.num_agpr, 0
	.set _Z20compute_kernel_tildePVffffii.numbered_sgpr, 11
	.set _Z20compute_kernel_tildePVffffii.num_named_barrier, 0
	.set _Z20compute_kernel_tildePVffffii.private_seg_size, 0
	.set _Z20compute_kernel_tildePVffffii.uses_vcc, 1
	.set _Z20compute_kernel_tildePVffffii.uses_flat_scratch, 0
	.set _Z20compute_kernel_tildePVffffii.has_dyn_sized_stack, 0
	.set _Z20compute_kernel_tildePVffffii.has_recursion, 0
	.set _Z20compute_kernel_tildePVffffii.has_indirect_call, 0
	.section	.AMDGPU.csdata,"",@progbits
; Kernel info:
; codeLenInByte = 1408
; TotalNumSgprs: 17
; NumVgprs: 18
; NumAgprs: 0
; TotalNumVgprs: 18
; ScratchSize: 0
; MemoryBound: 0
; FloatMode: 240
; IeeeMode: 1
; LDSByteSize: 0 bytes/workgroup (compile time only)
; SGPRBlocks: 2
; VGPRBlocks: 2
; NumSGPRsForWavesPerEU: 17
; NumVGPRsForWavesPerEU: 18
; AccumOffset: 20
; Occupancy: 8
; WaveLimiterHint : 0
; COMPUTE_PGM_RSRC2:SCRATCH_EN: 0
; COMPUTE_PGM_RSRC2:USER_SGPR: 2
; COMPUTE_PGM_RSRC2:TRAP_HANDLER: 0
; COMPUTE_PGM_RSRC2:TGID_X_EN: 1
; COMPUTE_PGM_RSRC2:TGID_Y_EN: 0
; COMPUTE_PGM_RSRC2:TGID_Z_EN: 0
; COMPUTE_PGM_RSRC2:TIDIG_COMP_CNT: 0
; COMPUTE_PGM_RSRC3_GFX90A:ACCUM_OFFSET: 4
; COMPUTE_PGM_RSRC3_GFX90A:TG_SPLIT: 0
	.text
	.protected	_Z30compute_upper_and_lower_boundsPVfS0_fffii ; -- Begin function _Z30compute_upper_and_lower_boundsPVfS0_fffii
	.globl	_Z30compute_upper_and_lower_boundsPVfS0_fffii
	.p2align	8
	.type	_Z30compute_upper_and_lower_boundsPVfS0_fffii,@function
_Z30compute_upper_and_lower_boundsPVfS0_fffii: ; @_Z30compute_upper_and_lower_boundsPVfS0_fffii
; %bb.0:
	s_load_dword s3, s[0:1], 0x34
	s_load_dwordx4 s[4:7], s[0:1], 0x10
	s_waitcnt lgkmcnt(0)
	s_and_b32 s3, s3, 0xffff
	s_mul_i32 s2, s2, s3
	v_add_u32_e32 v0, s2, v0
	s_mul_i32 s2, s7, s7
	v_cmp_gt_i32_e32 vcc, s2, v0
	s_and_saveexec_b64 s[2:3], vcc
	s_cbranch_execz .LBB7_2
; %bb.1:
	s_abs_i32 s2, s7
	v_cvt_f32_u32_e32 v1, s2
	s_sub_i32 s3, 0, s2
	v_sub_u32_e32 v3, 0, v0
	v_max_i32_e32 v3, v0, v3
	v_rcp_iflag_f32_e32 v1, v1
	v_xor_b32_e32 v2, s7, v0
	v_ashrrev_i32_e32 v2, 31, v2
	v_mov_b32_e32 v7, s5
	v_mul_f32_e32 v1, 0x4f7ffffe, v1
	v_cvt_u32_f32_e32 v1, v1
	v_mul_lo_u32 v4, s3, v1
	v_mul_hi_u32 v4, v1, v4
	v_add_u32_e32 v1, v1, v4
	v_mul_hi_u32 v1, v3, v1
	v_mul_lo_u32 v4, v1, s2
	v_sub_u32_e32 v3, v3, v4
	v_add_u32_e32 v5, 1, v1
	v_cmp_le_u32_e32 vcc, s2, v3
	v_subrev_u32_e32 v4, s2, v3
	s_nop 0
	v_cndmask_b32_e32 v1, v1, v5, vcc
	v_cndmask_b32_e32 v3, v3, v4, vcc
	v_add_u32_e32 v4, 1, v1
	v_cmp_le_u32_e32 vcc, s2, v3
	s_load_dwordx4 s[8:11], s[0:1], 0x0
	s_load_dword s2, s[0:1], 0x20
	v_cndmask_b32_e32 v1, v1, v4, vcc
	v_xor_b32_e32 v1, v1, v2
	v_sub_u32_e32 v6, v1, v2
	v_mul_lo_u32 v1, v6, s7
	v_sub_u32_e32 v2, v0, v1
	v_cvt_f32_i32_e32 v1, v2
	v_add_u32_e32 v2, 1, v2
	v_cvt_f32_i32_e32 v9, v2
	v_fma_f32 v8, s4, v1, v7
	v_ashrrev_i32_e32 v1, 31, v0
	v_lshlrev_b64 v[2:3], 2, v[0:1]
	s_waitcnt lgkmcnt(0)
	v_lshl_add_u64 v[4:5], s[10:11], 0, v[2:3]
	v_fma_f32 v1, s4, v9, v7
	v_lshl_add_u64 v[2:3], s[8:9], 0, v[2:3]
	flat_store_dword v[4:5], v8 sc0 sc1
	s_waitcnt vmcnt(0)
	v_cvt_f32_i32_e32 v4, v6
	flat_store_dword v[2:3], v1 sc0 sc1
	s_waitcnt vmcnt(0)
	v_add_u32_e32 v2, 1, v6
	v_add_u32_e32 v0, s2, v0
	v_cvt_f32_i32_e32 v6, v2
	v_ashrrev_i32_e32 v1, 31, v0
	v_mov_b32_e32 v5, s6
	v_lshlrev_b64 v[0:1], 2, v[0:1]
	v_fma_f32 v4, s4, v4, v5
	v_lshl_add_u64 v[2:3], s[10:11], 0, v[0:1]
	flat_store_dword v[2:3], v4 sc0 sc1
	s_waitcnt vmcnt(0)
	v_fma_f32 v2, s4, v6, v5
	v_lshl_add_u64 v[0:1], s[8:9], 0, v[0:1]
	flat_store_dword v[0:1], v2 sc0 sc1
	s_waitcnt vmcnt(0)
.LBB7_2:
	s_endpgm
	.section	.rodata,"a",@progbits
	.p2align	6, 0x0
	.amdhsa_kernel _Z30compute_upper_and_lower_boundsPVfS0_fffii
		.amdhsa_group_segment_fixed_size 0
		.amdhsa_private_segment_fixed_size 0
		.amdhsa_kernarg_size 296
		.amdhsa_user_sgpr_count 2
		.amdhsa_user_sgpr_dispatch_ptr 0
		.amdhsa_user_sgpr_queue_ptr 0
		.amdhsa_user_sgpr_kernarg_segment_ptr 1
		.amdhsa_user_sgpr_dispatch_id 0
		.amdhsa_user_sgpr_kernarg_preload_length 0
		.amdhsa_user_sgpr_kernarg_preload_offset 0
		.amdhsa_user_sgpr_private_segment_size 0
		.amdhsa_uses_dynamic_stack 0
		.amdhsa_enable_private_segment 0
		.amdhsa_system_sgpr_workgroup_id_x 1
		.amdhsa_system_sgpr_workgroup_id_y 0
		.amdhsa_system_sgpr_workgroup_id_z 0
		.amdhsa_system_sgpr_workgroup_info 0
		.amdhsa_system_vgpr_workitem_id 0
		.amdhsa_next_free_vgpr 10
		.amdhsa_next_free_sgpr 12
		.amdhsa_accum_offset 12
		.amdhsa_reserve_vcc 1
		.amdhsa_float_round_mode_32 0
		.amdhsa_float_round_mode_16_64 0
		.amdhsa_float_denorm_mode_32 3
		.amdhsa_float_denorm_mode_16_64 3
		.amdhsa_dx10_clamp 1
		.amdhsa_ieee_mode 1
		.amdhsa_fp16_overflow 0
		.amdhsa_tg_split 0
		.amdhsa_exception_fp_ieee_invalid_op 0
		.amdhsa_exception_fp_denorm_src 0
		.amdhsa_exception_fp_ieee_div_zero 0
		.amdhsa_exception_fp_ieee_overflow 0
		.amdhsa_exception_fp_ieee_underflow 0
		.amdhsa_exception_fp_ieee_inexact 0
		.amdhsa_exception_int_div_zero 0
	.end_amdhsa_kernel
	.text
.Lfunc_end7:
	.size	_Z30compute_upper_and_lower_boundsPVfS0_fffii, .Lfunc_end7-_Z30compute_upper_and_lower_boundsPVfS0_fffii
                                        ; -- End function
	.set _Z30compute_upper_and_lower_boundsPVfS0_fffii.num_vgpr, 10
	.set _Z30compute_upper_and_lower_boundsPVfS0_fffii.num_agpr, 0
	.set _Z30compute_upper_and_lower_boundsPVfS0_fffii.numbered_sgpr, 12
	.set _Z30compute_upper_and_lower_boundsPVfS0_fffii.num_named_barrier, 0
	.set _Z30compute_upper_and_lower_boundsPVfS0_fffii.private_seg_size, 0
	.set _Z30compute_upper_and_lower_boundsPVfS0_fffii.uses_vcc, 1
	.set _Z30compute_upper_and_lower_boundsPVfS0_fffii.uses_flat_scratch, 0
	.set _Z30compute_upper_and_lower_boundsPVfS0_fffii.has_dyn_sized_stack, 0
	.set _Z30compute_upper_and_lower_boundsPVfS0_fffii.has_recursion, 0
	.set _Z30compute_upper_and_lower_boundsPVfS0_fffii.has_indirect_call, 0
	.section	.AMDGPU.csdata,"",@progbits
; Kernel info:
; codeLenInByte = 388
; TotalNumSgprs: 18
; NumVgprs: 10
; NumAgprs: 0
; TotalNumVgprs: 10
; ScratchSize: 0
; MemoryBound: 0
; FloatMode: 240
; IeeeMode: 1
; LDSByteSize: 0 bytes/workgroup (compile time only)
; SGPRBlocks: 2
; VGPRBlocks: 1
; NumSGPRsForWavesPerEU: 18
; NumVGPRsForWavesPerEU: 10
; AccumOffset: 12
; Occupancy: 8
; WaveLimiterHint : 0
; COMPUTE_PGM_RSRC2:SCRATCH_EN: 0
; COMPUTE_PGM_RSRC2:USER_SGPR: 2
; COMPUTE_PGM_RSRC2:TRAP_HANDLER: 0
; COMPUTE_PGM_RSRC2:TGID_X_EN: 1
; COMPUTE_PGM_RSRC2:TGID_Y_EN: 0
; COMPUTE_PGM_RSRC2:TGID_Z_EN: 0
; COMPUTE_PGM_RSRC2:TIDIG_COMP_CNT: 0
; COMPUTE_PGM_RSRC3_GFX90A:ACCUM_OFFSET: 2
; COMPUTE_PGM_RSRC3_GFX90A:TG_SPLIT: 0
	.text
	.protected	_Z9DFT2D1gpuPfPN6thrust23THRUST_200600_302600_NS7complexIfEEii ; -- Begin function _Z9DFT2D1gpuPfPN6thrust23THRUST_200600_302600_NS7complexIfEEii
	.globl	_Z9DFT2D1gpuPfPN6thrust23THRUST_200600_302600_NS7complexIfEEii
	.p2align	8
	.type	_Z9DFT2D1gpuPfPN6thrust23THRUST_200600_302600_NS7complexIfEEii,@function
_Z9DFT2D1gpuPfPN6thrust23THRUST_200600_302600_NS7complexIfEEii: ; @_Z9DFT2D1gpuPfPN6thrust23THRUST_200600_302600_NS7complexIfEEii
; %bb.0:
	s_load_dword s4, s[0:1], 0x24
	s_load_dwordx2 s[6:7], s[0:1], 0x10
	v_bfe_u32 v1, v0, 10, 10
	v_and_b32_e32 v0, 0x3ff, v0
	s_waitcnt lgkmcnt(0)
	s_lshr_b32 s5, s4, 16
	s_mul_i32 s3, s3, s5
	v_add_u32_e32 v2, s3, v1
	s_and_b32 s3, s4, 0xffff
	s_mul_i32 s2, s2, s3
	v_add_u32_e32 v3, s2, v0
	v_cmp_gt_i32_e32 vcc, s6, v2
	v_cmp_gt_i32_e64 s[2:3], s7, v3
	s_and_b64 s[2:3], vcc, s[2:3]
	s_and_saveexec_b64 s[4:5], s[2:3]
	s_cbranch_execz .LBB8_10
; %bb.1:
	s_load_dwordx4 s[8:11], s[0:1], 0x0
	s_cmp_lt_i32 s7, 1
	s_cbranch_scc1 .LBB8_8
; %bb.2:
	v_cvt_f32_i32_e32 v0, v3
	v_cvt_f32_i32_e32 v1, s7
	v_mul_lo_u32 v6, v2, s7
	s_mov_b32 s14, 0
	s_brev_b32 s15, 18
	v_div_scale_f32 v4, s[0:1], v1, v1, v0
	v_rcp_f32_e32 v5, v4
	v_div_scale_f32 v7, vcc, v0, v1, v0
	s_mov_b32 s16, 0xfe5163ab
	v_fma_f32 v8, -v4, v5, 1.0
	v_fmac_f32_e32 v5, v8, v5
	v_mul_f32_e32 v8, v7, v5
	v_fma_f32 v9, -v4, v8, v7
	v_fmac_f32_e32 v8, v9, v5
	v_fma_f32 v4, -v4, v8, v7
	v_div_fmas_f32 v4, v4, v5, v8
	v_div_fixup_f32 v0, v4, v1, v0
	v_mul_f32_e32 v7, 0xc0c90fdb, v0
	v_mov_b32_e32 v5, 0
                                        ; implicit-def: $vgpr0
                                        ; implicit-def: $vgpr0
	;; [unrolled: 1-line block ×3, first 2 shown]
	s_mov_b32 s17, 0x3c439041
	s_mov_b32 s18, 0xdb629599
	;; [unrolled: 1-line block ×9, first 2 shown]
	v_mov_b32_e32 v8, 0x3c0881c4
	v_mov_b32_e32 v9, 0xbab64f3b
	s_movk_i32 s26, 0x1f8
	v_not_b32_e32 v10, 63
	v_not_b32_e32 v11, 31
	v_mov_b32_e32 v12, 0x7fc00000
	v_mov_b32_e32 v0, v5
	;; [unrolled: 1-line block ×3, first 2 shown]
	s_branch .LBB8_4
.LBB8_3:                                ;   in Loop: Header=BB8_4 Depth=1
	s_or_b64 exec, exec, s[0:1]
	v_add_u32_e32 v16, s14, v6
	v_ashrrev_i32_e32 v17, 31, v16
	s_waitcnt lgkmcnt(0)
	v_lshl_add_u64 v[16:17], v[16:17], 2, s[8:9]
	global_load_dword v16, v[16:17], off
	v_mul_f32_e32 v17, v4, v4
	v_fmamk_f32 v18, v17, 0xb94c1982, v8
	v_fmaak_f32 v18, v17, v18, 0xbe2aaa9d
	v_mul_f32_e32 v18, v17, v18
	v_fmac_f32_e32 v4, v4, v18
	v_fmamk_f32 v18, v17, 0x37d75334, v9
	v_fmaak_f32 v18, v17, v18, 0x3d2aabf7
	v_fmaak_f32 v18, v17, v18, 0xbf000004
	v_fma_f32 v17, v17, v18, 1.0
	v_lshlrev_b32_e32 v18, 30, v15
	v_and_b32_e32 v15, 1, v15
	v_cmp_eq_u32_e32 vcc, 0, v15
	v_xor_b32_e32 v14, v14, v13
	v_and_b32_e32 v18, 0x80000000, v18
	v_cndmask_b32_e32 v15, v17, v4, vcc
	v_xor_b32_e32 v4, 0x80000000, v4
	v_xor_b32_e32 v14, v14, v15
	v_cndmask_b32_e32 v4, v4, v17, vcc
	v_xor_b32_e32 v14, v14, v18
	v_xor_b32_e32 v4, v4, v18
	v_cmp_class_f32_e64 vcc, v13, s26
	s_add_i32 s14, s14, 1
	s_cmp_eq_u32 s7, s14
	v_cndmask_b32_e32 v15, v12, v14, vcc
	v_cndmask_b32_e32 v14, v12, v4, vcc
	s_waitcnt vmcnt(0)
	v_pk_fma_f32 v[0:1], v[16:17], v[14:15], v[0:1] op_sel_hi:[0,1,1]
	s_cbranch_scc1 .LBB8_9
.LBB8_4:                                ; =>This Inner Loop Header: Depth=1
	v_cvt_f32_u32_e32 v4, s14
                                        ; implicit-def: $vgpr15
	v_mul_f32_e32 v13, v7, v4
	v_and_b32_e32 v14, 0x7fffffff, v13
	v_cmp_nlt_f32_e64 s[0:1], |v13|, s15
                                        ; implicit-def: $vgpr4
	s_and_saveexec_b64 s[2:3], s[0:1]
	s_xor_b64 s[12:13], exec, s[2:3]
	s_cbranch_execz .LBB8_6
; %bb.5:                                ;   in Loop: Header=BB8_4 Depth=1
	v_lshrrev_b32_e32 v4, 23, v14
	v_add_u32_e32 v4, 0xffffff88, v4
	v_cmp_lt_u32_e32 vcc, 63, v4
	s_nop 1
	v_cndmask_b32_e32 v15, 0, v10, vcc
	v_add_u32_e32 v4, v15, v4
	v_cmp_lt_u32_e64 s[0:1], 31, v4
	s_nop 1
	v_cndmask_b32_e64 v15, 0, v11, s[0:1]
	v_add_u32_e32 v4, v15, v4
	v_cmp_lt_u32_e64 s[2:3], 31, v4
	s_nop 1
	v_cndmask_b32_e64 v15, 0, v11, s[2:3]
	v_add_u32_e32 v15, v15, v4
	v_and_b32_e32 v4, 0x7fffff, v14
	v_or_b32_e32 v28, 0x800000, v4
	v_mad_u64_u32 v[16:17], s[4:5], v28, s16, 0
	v_mov_b32_e32 v4, v17
	v_mad_u64_u32 v[18:19], s[4:5], v28, s17, v[4:5]
	v_mov_b32_e32 v4, v19
	;; [unrolled: 2-line block ×6, first 2 shown]
	v_mad_u64_u32 v[28:29], s[4:5], v28, s22, v[4:5]
	v_cndmask_b32_e32 v17, v26, v22, vcc
	v_cndmask_b32_e32 v4, v28, v24, vcc
	;; [unrolled: 1-line block ×3, first 2 shown]
	v_cndmask_b32_e64 v19, v4, v17, s[0:1]
	v_cndmask_b32_e64 v4, v21, v4, s[0:1]
	v_cndmask_b32_e32 v21, v24, v20, vcc
	v_cndmask_b32_e64 v17, v17, v21, s[0:1]
	v_cndmask_b32_e64 v4, v4, v19, s[2:3]
	;; [unrolled: 1-line block ×3, first 2 shown]
	v_sub_u32_e32 v23, 32, v15
	v_alignbit_b32 v24, v4, v19, v23
	v_cmp_eq_u32_e64 s[4:5], 0, v15
	v_cndmask_b32_e32 v16, v20, v16, vcc
	s_nop 0
	v_cndmask_b32_e64 v15, v24, v4, s[4:5]
	v_cndmask_b32_e32 v4, v22, v18, vcc
	v_cndmask_b32_e64 v18, v21, v4, s[0:1]
	v_cndmask_b32_e64 v17, v17, v18, s[2:3]
	v_alignbit_b32 v21, v19, v17, v23
	v_cndmask_b32_e64 v19, v21, v19, s[4:5]
	v_bfe_u32 v24, v15, 29, 1
	v_cndmask_b32_e64 v4, v4, v16, s[0:1]
	v_alignbit_b32 v21, v15, v19, 30
	v_sub_u32_e32 v25, 0, v24
	v_cndmask_b32_e64 v4, v18, v4, s[2:3]
	v_xor_b32_e32 v21, v21, v25
	v_alignbit_b32 v16, v17, v4, v23
	v_cndmask_b32_e64 v16, v16, v17, s[4:5]
	v_ffbh_u32_e32 v18, v21
	v_alignbit_b32 v17, v19, v16, 30
	v_min_u32_e32 v18, 32, v18
	v_alignbit_b32 v4, v16, v4, 30
	v_xor_b32_e32 v17, v17, v25
	v_sub_u32_e32 v19, 31, v18
	v_xor_b32_e32 v4, v4, v25
	v_alignbit_b32 v20, v21, v17, v19
	v_alignbit_b32 v4, v17, v4, v19
	;; [unrolled: 1-line block ×3, first 2 shown]
	v_ffbh_u32_e32 v17, v16
	v_min_u32_e32 v17, 32, v17
	v_lshrrev_b32_e32 v22, 29, v15
	v_not_b32_e32 v19, v17
	v_alignbit_b32 v4, v16, v4, v19
	v_lshlrev_b32_e32 v16, 31, v22
	v_or_b32_e32 v19, 0x33000000, v16
	v_add_lshl_u32 v17, v17, v18, 23
	v_lshrrev_b32_e32 v4, 9, v4
	v_sub_u32_e32 v17, v19, v17
	v_or_b32_e32 v16, 0.5, v16
	v_lshlrev_b32_e32 v18, 23, v18
	v_or_b32_e32 v4, v17, v4
	v_lshrrev_b32_e32 v17, 9, v20
	v_sub_u32_e32 v16, v16, v18
	v_or_b32_e32 v16, v17, v16
	v_mul_f32_e32 v17, 0x3fc90fda, v16
	v_fma_f32 v18, v16, s23, -v17
	v_fmac_f32_e32 v18, 0x33a22168, v16
	v_fmac_f32_e32 v18, 0x3fc90fda, v4
	v_lshrrev_b32_e32 v15, 30, v15
	v_add_f32_e32 v4, v17, v18
	v_add_u32_e32 v15, v24, v15
.LBB8_6:                                ;   in Loop: Header=BB8_4 Depth=1
	s_andn2_saveexec_b64 s[0:1], s[12:13]
	s_cbranch_execz .LBB8_3
; %bb.7:                                ;   in Loop: Header=BB8_4 Depth=1
	v_mul_f32_e64 v4, |v13|, s24
	v_rndne_f32_e32 v16, v4
	v_cvt_i32_f32_e32 v15, v16
	v_fma_f32 v4, v16, s25, |v13|
	v_fmac_f32_e32 v4, 0xb3a22168, v16
	v_fmac_f32_e32 v4, 0xa7c234c4, v16
	s_branch .LBB8_3
.LBB8_8:
	v_mov_b32_e32 v1, 0
	v_mov_b32_e32 v0, v1
.LBB8_9:
	v_mad_u64_u32 v[2:3], s[0:1], v3, s6, v[2:3]
	s_waitcnt lgkmcnt(0)
	v_mov_b32_e32 v4, s10
	v_mov_b32_e32 v5, s11
	v_ashrrev_i32_e32 v3, 31, v2
	v_lshl_add_u64 v[2:3], v[2:3], 3, v[4:5]
	global_store_dwordx2 v[2:3], v[0:1], off
.LBB8_10:
	s_endpgm
	.section	.rodata,"a",@progbits
	.p2align	6, 0x0
	.amdhsa_kernel _Z9DFT2D1gpuPfPN6thrust23THRUST_200600_302600_NS7complexIfEEii
		.amdhsa_group_segment_fixed_size 0
		.amdhsa_private_segment_fixed_size 0
		.amdhsa_kernarg_size 280
		.amdhsa_user_sgpr_count 2
		.amdhsa_user_sgpr_dispatch_ptr 0
		.amdhsa_user_sgpr_queue_ptr 0
		.amdhsa_user_sgpr_kernarg_segment_ptr 1
		.amdhsa_user_sgpr_dispatch_id 0
		.amdhsa_user_sgpr_kernarg_preload_length 0
		.amdhsa_user_sgpr_kernarg_preload_offset 0
		.amdhsa_user_sgpr_private_segment_size 0
		.amdhsa_uses_dynamic_stack 0
		.amdhsa_enable_private_segment 0
		.amdhsa_system_sgpr_workgroup_id_x 1
		.amdhsa_system_sgpr_workgroup_id_y 1
		.amdhsa_system_sgpr_workgroup_id_z 0
		.amdhsa_system_sgpr_workgroup_info 0
		.amdhsa_system_vgpr_workitem_id 1
		.amdhsa_next_free_vgpr 30
		.amdhsa_next_free_sgpr 27
		.amdhsa_accum_offset 32
		.amdhsa_reserve_vcc 1
		.amdhsa_float_round_mode_32 0
		.amdhsa_float_round_mode_16_64 0
		.amdhsa_float_denorm_mode_32 3
		.amdhsa_float_denorm_mode_16_64 3
		.amdhsa_dx10_clamp 1
		.amdhsa_ieee_mode 1
		.amdhsa_fp16_overflow 0
		.amdhsa_tg_split 0
		.amdhsa_exception_fp_ieee_invalid_op 0
		.amdhsa_exception_fp_denorm_src 0
		.amdhsa_exception_fp_ieee_div_zero 0
		.amdhsa_exception_fp_ieee_overflow 0
		.amdhsa_exception_fp_ieee_underflow 0
		.amdhsa_exception_fp_ieee_inexact 0
		.amdhsa_exception_int_div_zero 0
	.end_amdhsa_kernel
	.text
.Lfunc_end8:
	.size	_Z9DFT2D1gpuPfPN6thrust23THRUST_200600_302600_NS7complexIfEEii, .Lfunc_end8-_Z9DFT2D1gpuPfPN6thrust23THRUST_200600_302600_NS7complexIfEEii
                                        ; -- End function
	.set _Z9DFT2D1gpuPfPN6thrust23THRUST_200600_302600_NS7complexIfEEii.num_vgpr, 30
	.set _Z9DFT2D1gpuPfPN6thrust23THRUST_200600_302600_NS7complexIfEEii.num_agpr, 0
	.set _Z9DFT2D1gpuPfPN6thrust23THRUST_200600_302600_NS7complexIfEEii.numbered_sgpr, 27
	.set _Z9DFT2D1gpuPfPN6thrust23THRUST_200600_302600_NS7complexIfEEii.num_named_barrier, 0
	.set _Z9DFT2D1gpuPfPN6thrust23THRUST_200600_302600_NS7complexIfEEii.private_seg_size, 0
	.set _Z9DFT2D1gpuPfPN6thrust23THRUST_200600_302600_NS7complexIfEEii.uses_vcc, 1
	.set _Z9DFT2D1gpuPfPN6thrust23THRUST_200600_302600_NS7complexIfEEii.uses_flat_scratch, 0
	.set _Z9DFT2D1gpuPfPN6thrust23THRUST_200600_302600_NS7complexIfEEii.has_dyn_sized_stack, 0
	.set _Z9DFT2D1gpuPfPN6thrust23THRUST_200600_302600_NS7complexIfEEii.has_recursion, 0
	.set _Z9DFT2D1gpuPfPN6thrust23THRUST_200600_302600_NS7complexIfEEii.has_indirect_call, 0
	.section	.AMDGPU.csdata,"",@progbits
; Kernel info:
; codeLenInByte = 1200
; TotalNumSgprs: 33
; NumVgprs: 30
; NumAgprs: 0
; TotalNumVgprs: 30
; ScratchSize: 0
; MemoryBound: 0
; FloatMode: 240
; IeeeMode: 1
; LDSByteSize: 0 bytes/workgroup (compile time only)
; SGPRBlocks: 4
; VGPRBlocks: 3
; NumSGPRsForWavesPerEU: 33
; NumVGPRsForWavesPerEU: 30
; AccumOffset: 32
; Occupancy: 8
; WaveLimiterHint : 0
; COMPUTE_PGM_RSRC2:SCRATCH_EN: 0
; COMPUTE_PGM_RSRC2:USER_SGPR: 2
; COMPUTE_PGM_RSRC2:TRAP_HANDLER: 0
; COMPUTE_PGM_RSRC2:TGID_X_EN: 1
; COMPUTE_PGM_RSRC2:TGID_Y_EN: 1
; COMPUTE_PGM_RSRC2:TGID_Z_EN: 0
; COMPUTE_PGM_RSRC2:TIDIG_COMP_CNT: 1
; COMPUTE_PGM_RSRC3_GFX90A:ACCUM_OFFSET: 7
; COMPUTE_PGM_RSRC3_GFX90A:TG_SPLIT: 0
	.text
	.protected	_Z9DFT2D2gpuPN6thrust23THRUST_200600_302600_NS7complexIfEES3_ii ; -- Begin function _Z9DFT2D2gpuPN6thrust23THRUST_200600_302600_NS7complexIfEES3_ii
	.globl	_Z9DFT2D2gpuPN6thrust23THRUST_200600_302600_NS7complexIfEES3_ii
	.p2align	8
	.type	_Z9DFT2D2gpuPN6thrust23THRUST_200600_302600_NS7complexIfEES3_ii,@function
_Z9DFT2D2gpuPN6thrust23THRUST_200600_302600_NS7complexIfEES3_ii: ; @_Z9DFT2D2gpuPN6thrust23THRUST_200600_302600_NS7complexIfEES3_ii
; %bb.0:
	s_load_dword s4, s[0:1], 0x24
	s_load_dwordx2 s[6:7], s[0:1], 0x10
	v_bfe_u32 v1, v0, 10, 10
	v_and_b32_e32 v0, 0x3ff, v0
	s_waitcnt lgkmcnt(0)
	s_lshr_b32 s5, s4, 16
	s_mul_i32 s3, s3, s5
	v_add_u32_e32 v2, s3, v1
	s_and_b32 s3, s4, 0xffff
	s_mul_i32 s2, s2, s3
	v_add_u32_e32 v3, s2, v0
	v_cmp_gt_i32_e32 vcc, s6, v2
	v_cmp_gt_i32_e64 s[2:3], s7, v3
	s_and_b64 s[2:3], vcc, s[2:3]
	s_and_saveexec_b64 s[4:5], s[2:3]
	s_cbranch_execz .LBB9_10
; %bb.1:
	s_load_dwordx4 s[8:11], s[0:1], 0x0
	s_cmp_lt_i32 s7, 1
	s_cbranch_scc1 .LBB9_8
; %bb.2:
	v_cvt_f32_i32_e32 v0, v3
	v_cvt_f32_i32_e32 v1, s7
	v_mul_lo_u32 v6, v2, s7
	s_mov_b32 s14, 0
	s_brev_b32 s15, 18
	v_div_scale_f32 v4, s[0:1], v1, v1, v0
	v_rcp_f32_e32 v5, v4
	v_div_scale_f32 v7, vcc, v0, v1, v0
	s_mov_b32 s16, 0xfe5163ab
	v_fma_f32 v8, -v4, v5, 1.0
	v_fmac_f32_e32 v5, v8, v5
	v_mul_f32_e32 v8, v7, v5
	v_fma_f32 v9, -v4, v8, v7
	v_fmac_f32_e32 v8, v9, v5
	v_fma_f32 v4, -v4, v8, v7
	v_div_fmas_f32 v4, v4, v5, v8
	v_div_fixup_f32 v0, v4, v1, v0
	v_mul_f32_e32 v7, 0xc0c90fdb, v0
	v_mov_b32_e32 v5, 0
                                        ; implicit-def: $vgpr0
                                        ; implicit-def: $vgpr0
	;; [unrolled: 1-line block ×3, first 2 shown]
	s_mov_b32 s17, 0x3c439041
	s_mov_b32 s18, 0xdb629599
	s_mov_b32 s19, 0xf534ddc0
	s_mov_b32 s20, 0xfc2757d1
	s_mov_b32 s21, 0x4e441529
	s_mov_b32 s22, 0xa2f9836e
	s_mov_b32 s23, 0x3fc90fda
	s_mov_b32 s24, 0x3f22f983
	s_mov_b32 s25, 0xbfc90fda
	v_mov_b32_e32 v8, 0x3c0881c4
	v_mov_b32_e32 v9, 0xbab64f3b
	s_brev_b32 s26, 1
	s_movk_i32 s27, 0x1f8
	v_not_b32_e32 v10, 63
	v_not_b32_e32 v11, 31
	v_mov_b32_e32 v12, 0x7fc00000
	v_mov_b32_e32 v0, v5
	;; [unrolled: 1-line block ×3, first 2 shown]
	s_branch .LBB9_4
.LBB9_3:                                ;   in Loop: Header=BB9_4 Depth=1
	s_or_b64 exec, exec, s[0:1]
	v_add_u32_e32 v16, s14, v6
	v_ashrrev_i32_e32 v17, 31, v16
	s_waitcnt lgkmcnt(0)
	v_lshl_add_u64 v[16:17], v[16:17], 3, s[8:9]
	global_load_dwordx2 v[16:17], v[16:17], off
	v_mul_f32_e32 v18, v4, v4
	v_fmamk_f32 v20, v18, 0xb94c1982, v8
	v_fmamk_f32 v21, v18, 0x37d75334, v9
	v_fmaak_f32 v20, v18, v20, 0xbe2aaa9d
	v_fmaak_f32 v21, v18, v21, 0x3d2aabf7
	v_lshlrev_b32_e32 v19, 30, v15
	v_and_b32_e32 v15, 1, v15
	v_mul_f32_e32 v20, v18, v20
	v_fmaak_f32 v21, v18, v21, 0xbf000004
	v_fmac_f32_e32 v4, v4, v20
	v_fma_f32 v18, v18, v21, 1.0
	v_cmp_eq_u32_e32 vcc, 0, v15
	v_xor_b32_e32 v14, v14, v13
	v_and_b32_e32 v22, 0x80000000, v19
	v_cndmask_b32_e32 v15, v18, v4, vcc
	v_xor_b32_e32 v4, 0x80000000, v4
	v_xor_b32_e32 v14, v14, v15
	v_cndmask_b32_e32 v4, v4, v18, vcc
	v_xor_b32_e32 v14, v14, v22
	v_cmp_class_f32_e64 vcc, v13, s27
	v_bitop3_b32 v4, v4, v19, s26 bitop3:0x78
	s_add_i32 s14, s14, 1
	v_cndmask_b32_e32 v14, v12, v14, vcc
	v_cndmask_b32_e32 v4, v12, v4, vcc
	s_cmp_eq_u32 s7, s14
	s_waitcnt vmcnt(0)
	v_pk_mul_f32 v[14:15], v[16:17], v[14:15] op_sel:[1,0] op_sel_hi:[0,0]
	v_pk_fma_f32 v[18:19], v[16:17], v[4:5], v[14:15] neg_lo:[0,0,1] neg_hi:[0,0,1]
	v_pk_fma_f32 v[14:15], v[16:17], v[4:5], v[14:15] op_sel_hi:[1,0,1]
	s_nop 0
	v_mov_b32_e32 v19, v15
	v_pk_add_f32 v[0:1], v[0:1], v[18:19]
	s_cbranch_scc1 .LBB9_9
.LBB9_4:                                ; =>This Inner Loop Header: Depth=1
	v_cvt_f32_u32_e32 v4, s14
                                        ; implicit-def: $vgpr15
	v_mul_f32_e32 v13, v7, v4
	v_and_b32_e32 v14, 0x7fffffff, v13
	v_cmp_nlt_f32_e64 s[0:1], |v13|, s15
                                        ; implicit-def: $vgpr4
	s_and_saveexec_b64 s[2:3], s[0:1]
	s_xor_b64 s[12:13], exec, s[2:3]
	s_cbranch_execz .LBB9_6
; %bb.5:                                ;   in Loop: Header=BB9_4 Depth=1
	v_lshrrev_b32_e32 v4, 23, v14
	v_add_u32_e32 v4, 0xffffff88, v4
	v_cmp_lt_u32_e32 vcc, 63, v4
	s_nop 1
	v_cndmask_b32_e32 v15, 0, v10, vcc
	v_add_u32_e32 v4, v15, v4
	v_cmp_lt_u32_e64 s[0:1], 31, v4
	s_nop 1
	v_cndmask_b32_e64 v15, 0, v11, s[0:1]
	v_add_u32_e32 v4, v15, v4
	v_cmp_lt_u32_e64 s[2:3], 31, v4
	s_nop 1
	v_cndmask_b32_e64 v15, 0, v11, s[2:3]
	v_add_u32_e32 v15, v15, v4
	v_and_b32_e32 v4, 0x7fffff, v14
	v_or_b32_e32 v28, 0x800000, v4
	v_mad_u64_u32 v[16:17], s[4:5], v28, s16, 0
	v_mov_b32_e32 v4, v17
	v_mad_u64_u32 v[18:19], s[4:5], v28, s17, v[4:5]
	v_mov_b32_e32 v4, v19
	;; [unrolled: 2-line block ×6, first 2 shown]
	v_mad_u64_u32 v[28:29], s[4:5], v28, s22, v[4:5]
	v_cndmask_b32_e32 v17, v26, v22, vcc
	v_cndmask_b32_e32 v4, v28, v24, vcc
	;; [unrolled: 1-line block ×3, first 2 shown]
	v_cndmask_b32_e64 v19, v4, v17, s[0:1]
	v_cndmask_b32_e64 v4, v21, v4, s[0:1]
	v_cndmask_b32_e32 v21, v24, v20, vcc
	v_cndmask_b32_e64 v17, v17, v21, s[0:1]
	v_cndmask_b32_e64 v4, v4, v19, s[2:3]
	;; [unrolled: 1-line block ×3, first 2 shown]
	v_sub_u32_e32 v23, 32, v15
	v_alignbit_b32 v24, v4, v19, v23
	v_cmp_eq_u32_e64 s[4:5], 0, v15
	v_cndmask_b32_e32 v16, v20, v16, vcc
	s_nop 0
	v_cndmask_b32_e64 v15, v24, v4, s[4:5]
	v_cndmask_b32_e32 v4, v22, v18, vcc
	v_cndmask_b32_e64 v18, v21, v4, s[0:1]
	v_cndmask_b32_e64 v17, v17, v18, s[2:3]
	v_alignbit_b32 v21, v19, v17, v23
	v_cndmask_b32_e64 v19, v21, v19, s[4:5]
	v_bfe_u32 v24, v15, 29, 1
	v_cndmask_b32_e64 v4, v4, v16, s[0:1]
	v_alignbit_b32 v21, v15, v19, 30
	v_sub_u32_e32 v25, 0, v24
	v_cndmask_b32_e64 v4, v18, v4, s[2:3]
	v_xor_b32_e32 v21, v21, v25
	v_alignbit_b32 v16, v17, v4, v23
	v_cndmask_b32_e64 v16, v16, v17, s[4:5]
	v_ffbh_u32_e32 v18, v21
	v_alignbit_b32 v17, v19, v16, 30
	v_min_u32_e32 v18, 32, v18
	v_alignbit_b32 v4, v16, v4, 30
	v_xor_b32_e32 v17, v17, v25
	v_sub_u32_e32 v19, 31, v18
	v_xor_b32_e32 v4, v4, v25
	v_alignbit_b32 v20, v21, v17, v19
	v_alignbit_b32 v4, v17, v4, v19
	;; [unrolled: 1-line block ×3, first 2 shown]
	v_ffbh_u32_e32 v17, v16
	v_min_u32_e32 v17, 32, v17
	v_lshrrev_b32_e32 v22, 29, v15
	v_not_b32_e32 v19, v17
	v_alignbit_b32 v4, v16, v4, v19
	v_lshlrev_b32_e32 v16, 31, v22
	v_or_b32_e32 v19, 0x33000000, v16
	v_add_lshl_u32 v17, v17, v18, 23
	v_lshrrev_b32_e32 v4, 9, v4
	v_sub_u32_e32 v17, v19, v17
	v_or_b32_e32 v16, 0.5, v16
	v_lshlrev_b32_e32 v18, 23, v18
	v_or_b32_e32 v4, v17, v4
	v_lshrrev_b32_e32 v17, 9, v20
	v_sub_u32_e32 v16, v16, v18
	v_or_b32_e32 v16, v17, v16
	v_mul_f32_e32 v17, 0x3fc90fda, v16
	v_fma_f32 v18, v16, s23, -v17
	v_fmac_f32_e32 v18, 0x33a22168, v16
	v_fmac_f32_e32 v18, 0x3fc90fda, v4
	v_lshrrev_b32_e32 v15, 30, v15
	v_add_f32_e32 v4, v17, v18
	v_add_u32_e32 v15, v24, v15
.LBB9_6:                                ;   in Loop: Header=BB9_4 Depth=1
	s_andn2_saveexec_b64 s[0:1], s[12:13]
	s_cbranch_execz .LBB9_3
; %bb.7:                                ;   in Loop: Header=BB9_4 Depth=1
	v_mul_f32_e64 v4, |v13|, s24
	v_rndne_f32_e32 v16, v4
	v_cvt_i32_f32_e32 v15, v16
	v_fma_f32 v4, v16, s25, |v13|
	v_fmac_f32_e32 v4, 0xb3a22168, v16
	v_fmac_f32_e32 v4, 0xa7c234c4, v16
	s_branch .LBB9_3
.LBB9_8:
	v_mov_b32_e32 v1, 0
	v_mov_b32_e32 v0, v1
.LBB9_9:
	v_mad_u64_u32 v[2:3], s[0:1], v3, s6, v[2:3]
	s_waitcnt lgkmcnt(0)
	v_mov_b32_e32 v4, s10
	v_mov_b32_e32 v5, s11
	v_ashrrev_i32_e32 v3, 31, v2
	v_lshl_add_u64 v[2:3], v[2:3], 3, v[4:5]
	global_store_dwordx2 v[2:3], v[0:1], off
.LBB9_10:
	s_endpgm
	.section	.rodata,"a",@progbits
	.p2align	6, 0x0
	.amdhsa_kernel _Z9DFT2D2gpuPN6thrust23THRUST_200600_302600_NS7complexIfEES3_ii
		.amdhsa_group_segment_fixed_size 0
		.amdhsa_private_segment_fixed_size 0
		.amdhsa_kernarg_size 280
		.amdhsa_user_sgpr_count 2
		.amdhsa_user_sgpr_dispatch_ptr 0
		.amdhsa_user_sgpr_queue_ptr 0
		.amdhsa_user_sgpr_kernarg_segment_ptr 1
		.amdhsa_user_sgpr_dispatch_id 0
		.amdhsa_user_sgpr_kernarg_preload_length 0
		.amdhsa_user_sgpr_kernarg_preload_offset 0
		.amdhsa_user_sgpr_private_segment_size 0
		.amdhsa_uses_dynamic_stack 0
		.amdhsa_enable_private_segment 0
		.amdhsa_system_sgpr_workgroup_id_x 1
		.amdhsa_system_sgpr_workgroup_id_y 1
		.amdhsa_system_sgpr_workgroup_id_z 0
		.amdhsa_system_sgpr_workgroup_info 0
		.amdhsa_system_vgpr_workitem_id 1
		.amdhsa_next_free_vgpr 30
		.amdhsa_next_free_sgpr 28
		.amdhsa_accum_offset 32
		.amdhsa_reserve_vcc 1
		.amdhsa_float_round_mode_32 0
		.amdhsa_float_round_mode_16_64 0
		.amdhsa_float_denorm_mode_32 3
		.amdhsa_float_denorm_mode_16_64 3
		.amdhsa_dx10_clamp 1
		.amdhsa_ieee_mode 1
		.amdhsa_fp16_overflow 0
		.amdhsa_tg_split 0
		.amdhsa_exception_fp_ieee_invalid_op 0
		.amdhsa_exception_fp_denorm_src 0
		.amdhsa_exception_fp_ieee_div_zero 0
		.amdhsa_exception_fp_ieee_overflow 0
		.amdhsa_exception_fp_ieee_underflow 0
		.amdhsa_exception_fp_ieee_inexact 0
		.amdhsa_exception_int_div_zero 0
	.end_amdhsa_kernel
	.text
.Lfunc_end9:
	.size	_Z9DFT2D2gpuPN6thrust23THRUST_200600_302600_NS7complexIfEES3_ii, .Lfunc_end9-_Z9DFT2D2gpuPN6thrust23THRUST_200600_302600_NS7complexIfEES3_ii
                                        ; -- End function
	.set _Z9DFT2D2gpuPN6thrust23THRUST_200600_302600_NS7complexIfEES3_ii.num_vgpr, 30
	.set _Z9DFT2D2gpuPN6thrust23THRUST_200600_302600_NS7complexIfEES3_ii.num_agpr, 0
	.set _Z9DFT2D2gpuPN6thrust23THRUST_200600_302600_NS7complexIfEES3_ii.numbered_sgpr, 28
	.set _Z9DFT2D2gpuPN6thrust23THRUST_200600_302600_NS7complexIfEES3_ii.num_named_barrier, 0
	.set _Z9DFT2D2gpuPN6thrust23THRUST_200600_302600_NS7complexIfEES3_ii.private_seg_size, 0
	.set _Z9DFT2D2gpuPN6thrust23THRUST_200600_302600_NS7complexIfEES3_ii.uses_vcc, 1
	.set _Z9DFT2D2gpuPN6thrust23THRUST_200600_302600_NS7complexIfEES3_ii.uses_flat_scratch, 0
	.set _Z9DFT2D2gpuPN6thrust23THRUST_200600_302600_NS7complexIfEES3_ii.has_dyn_sized_stack, 0
	.set _Z9DFT2D2gpuPN6thrust23THRUST_200600_302600_NS7complexIfEES3_ii.has_recursion, 0
	.set _Z9DFT2D2gpuPN6thrust23THRUST_200600_302600_NS7complexIfEES3_ii.has_indirect_call, 0
	.section	.AMDGPU.csdata,"",@progbits
; Kernel info:
; codeLenInByte = 1240
; TotalNumSgprs: 34
; NumVgprs: 30
; NumAgprs: 0
; TotalNumVgprs: 30
; ScratchSize: 0
; MemoryBound: 0
; FloatMode: 240
; IeeeMode: 1
; LDSByteSize: 0 bytes/workgroup (compile time only)
; SGPRBlocks: 4
; VGPRBlocks: 3
; NumSGPRsForWavesPerEU: 34
; NumVGPRsForWavesPerEU: 30
; AccumOffset: 32
; Occupancy: 8
; WaveLimiterHint : 0
; COMPUTE_PGM_RSRC2:SCRATCH_EN: 0
; COMPUTE_PGM_RSRC2:USER_SGPR: 2
; COMPUTE_PGM_RSRC2:TRAP_HANDLER: 0
; COMPUTE_PGM_RSRC2:TGID_X_EN: 1
; COMPUTE_PGM_RSRC2:TGID_Y_EN: 1
; COMPUTE_PGM_RSRC2:TGID_Z_EN: 0
; COMPUTE_PGM_RSRC2:TIDIG_COMP_CNT: 1
; COMPUTE_PGM_RSRC3_GFX90A:ACCUM_OFFSET: 7
; COMPUTE_PGM_RSRC3_GFX90A:TG_SPLIT: 0
	.text
	.protected	_Z10iDFT2D1gpuPN6thrust23THRUST_200600_302600_NS7complexIfEES3_ii ; -- Begin function _Z10iDFT2D1gpuPN6thrust23THRUST_200600_302600_NS7complexIfEES3_ii
	.globl	_Z10iDFT2D1gpuPN6thrust23THRUST_200600_302600_NS7complexIfEES3_ii
	.p2align	8
	.type	_Z10iDFT2D1gpuPN6thrust23THRUST_200600_302600_NS7complexIfEES3_ii,@function
_Z10iDFT2D1gpuPN6thrust23THRUST_200600_302600_NS7complexIfEES3_ii: ; @_Z10iDFT2D1gpuPN6thrust23THRUST_200600_302600_NS7complexIfEES3_ii
; %bb.0:
	s_load_dword s4, s[0:1], 0x24
	s_load_dwordx2 s[6:7], s[0:1], 0x10
	v_bfe_u32 v1, v0, 10, 10
	v_and_b32_e32 v0, 0x3ff, v0
	s_waitcnt lgkmcnt(0)
	s_lshr_b32 s5, s4, 16
	s_mul_i32 s3, s3, s5
	v_add_u32_e32 v2, s3, v1
	s_and_b32 s3, s4, 0xffff
	s_mul_i32 s2, s2, s3
	v_add_u32_e32 v3, s2, v0
	v_cmp_gt_i32_e32 vcc, s6, v2
	v_cmp_gt_i32_e64 s[2:3], s7, v3
	s_and_b64 s[2:3], vcc, s[2:3]
	s_and_saveexec_b64 s[4:5], s[2:3]
	s_cbranch_execz .LBB10_17
; %bb.1:
	v_cvt_f32_i32_e32 v0, v3
	v_cvt_f32_i32_e32 v1, s7
	s_load_dwordx4 s[8:11], s[0:1], 0x0
	s_lshr_b32 s0, s7, 31
	s_add_i32 s0, s7, s0
	v_div_scale_f32 v4, s[2:3], v1, v1, v0
	v_rcp_f32_e32 v5, v4
	v_div_scale_f32 v6, vcc, v0, v1, v0
	s_ashr_i32 s15, s0, 1
	v_fma_f32 v7, -v4, v5, 1.0
	v_fmac_f32_e32 v5, v7, v5
	v_mul_f32_e32 v7, v6, v5
	v_fma_f32 v8, -v4, v7, v6
	v_fmac_f32_e32 v7, v8, v5
	v_fma_f32 v4, -v4, v7, v6
	v_div_fmas_f32 v4, v4, v5, v7
	v_div_fixup_f32 v0, v4, v1, v0
	s_add_i32 s14, s15, 1
	v_mul_f32_e32 v6, 0x40c90fdb, v0
	s_cmp_lt_i32 s7, -1
	s_mov_b32 s16, 0
	s_cbranch_scc1 .LBB10_8
; %bb.2:
	v_mov_b32_e32 v5, 0
                                        ; implicit-def: $vgpr0
                                        ; implicit-def: $vgpr0
	;; [unrolled: 1-line block ×3, first 2 shown]
	v_mul_lo_u32 v7, v2, s14
	s_brev_b32 s17, 18
	s_mov_b32 s18, 0xfe5163ab
	s_mov_b32 s19, 0x3c439041
	;; [unrolled: 1-line block ×10, first 2 shown]
	v_mov_b32_e32 v8, 0x3c0881c4
	v_mov_b32_e32 v9, 0xbab64f3b
	s_brev_b32 s28, 1
	s_movk_i32 s29, 0x1f8
	v_not_b32_e32 v10, 63
	v_not_b32_e32 v11, 31
	v_mov_b32_e32 v12, 0x7fc00000
	v_mov_b32_e32 v0, v5
	;; [unrolled: 1-line block ×3, first 2 shown]
	s_branch .LBB10_4
.LBB10_3:                               ;   in Loop: Header=BB10_4 Depth=1
	s_or_b64 exec, exec, s[0:1]
	v_add_u32_e32 v16, s16, v7
	v_ashrrev_i32_e32 v17, 31, v16
	s_waitcnt lgkmcnt(0)
	v_lshl_add_u64 v[16:17], v[16:17], 3, s[8:9]
	global_load_dwordx2 v[16:17], v[16:17], off
	v_mul_f32_e32 v18, v4, v4
	v_fmamk_f32 v20, v18, 0xb94c1982, v8
	v_fmamk_f32 v21, v18, 0x37d75334, v9
	v_fmaak_f32 v20, v18, v20, 0xbe2aaa9d
	v_fmaak_f32 v21, v18, v21, 0x3d2aabf7
	v_lshlrev_b32_e32 v19, 30, v15
	v_and_b32_e32 v15, 1, v15
	v_mul_f32_e32 v20, v18, v20
	v_fmaak_f32 v21, v18, v21, 0xbf000004
	v_fmac_f32_e32 v4, v4, v20
	v_fma_f32 v18, v18, v21, 1.0
	v_cmp_eq_u32_e32 vcc, 0, v15
	v_xor_b32_e32 v14, v14, v13
	v_and_b32_e32 v22, 0x80000000, v19
	v_cndmask_b32_e32 v15, v18, v4, vcc
	v_xor_b32_e32 v4, 0x80000000, v4
	v_xor_b32_e32 v14, v14, v15
	v_cndmask_b32_e32 v4, v4, v18, vcc
	v_xor_b32_e32 v14, v14, v22
	v_cmp_class_f32_e64 vcc, v13, s29
	v_bitop3_b32 v4, v4, v19, s28 bitop3:0x78
	s_add_i32 s16, s16, 1
	v_cndmask_b32_e32 v14, v12, v14, vcc
	v_cndmask_b32_e32 v4, v12, v4, vcc
	s_cmp_eq_u32 s14, s16
	s_waitcnt vmcnt(0)
	v_pk_mul_f32 v[14:15], v[16:17], v[14:15] op_sel:[1,0] op_sel_hi:[0,0]
	v_pk_fma_f32 v[18:19], v[16:17], v[4:5], v[14:15] neg_lo:[0,0,1] neg_hi:[0,0,1]
	v_pk_fma_f32 v[14:15], v[16:17], v[4:5], v[14:15] op_sel_hi:[1,0,1]
	s_nop 0
	v_mov_b32_e32 v19, v15
	v_pk_add_f32 v[0:1], v[0:1], v[18:19]
	s_cbranch_scc1 .LBB10_9
.LBB10_4:                               ; =>This Inner Loop Header: Depth=1
	v_cvt_f32_u32_e32 v4, s16
                                        ; implicit-def: $vgpr15
	v_mul_f32_e32 v13, v6, v4
	v_and_b32_e32 v14, 0x7fffffff, v13
	v_cmp_nlt_f32_e64 s[0:1], |v13|, s17
                                        ; implicit-def: $vgpr4
	s_and_saveexec_b64 s[2:3], s[0:1]
	s_xor_b64 s[12:13], exec, s[2:3]
	s_cbranch_execz .LBB10_6
; %bb.5:                                ;   in Loop: Header=BB10_4 Depth=1
	v_lshrrev_b32_e32 v4, 23, v14
	v_add_u32_e32 v4, 0xffffff88, v4
	v_cmp_lt_u32_e32 vcc, 63, v4
	s_nop 1
	v_cndmask_b32_e32 v15, 0, v10, vcc
	v_add_u32_e32 v4, v15, v4
	v_cmp_lt_u32_e64 s[0:1], 31, v4
	s_nop 1
	v_cndmask_b32_e64 v15, 0, v11, s[0:1]
	v_add_u32_e32 v4, v15, v4
	v_cmp_lt_u32_e64 s[2:3], 31, v4
	s_nop 1
	v_cndmask_b32_e64 v15, 0, v11, s[2:3]
	v_add_u32_e32 v15, v15, v4
	v_and_b32_e32 v4, 0x7fffff, v14
	v_or_b32_e32 v28, 0x800000, v4
	v_mad_u64_u32 v[16:17], s[4:5], v28, s18, 0
	v_mov_b32_e32 v4, v17
	v_mad_u64_u32 v[18:19], s[4:5], v28, s19, v[4:5]
	v_mov_b32_e32 v4, v19
	;; [unrolled: 2-line block ×6, first 2 shown]
	v_mad_u64_u32 v[28:29], s[4:5], v28, s24, v[4:5]
	v_cndmask_b32_e32 v17, v26, v22, vcc
	v_cndmask_b32_e32 v4, v28, v24, vcc
	;; [unrolled: 1-line block ×3, first 2 shown]
	v_cndmask_b32_e64 v19, v4, v17, s[0:1]
	v_cndmask_b32_e64 v4, v21, v4, s[0:1]
	v_cndmask_b32_e32 v21, v24, v20, vcc
	v_cndmask_b32_e64 v17, v17, v21, s[0:1]
	v_cndmask_b32_e64 v4, v4, v19, s[2:3]
	;; [unrolled: 1-line block ×3, first 2 shown]
	v_sub_u32_e32 v23, 32, v15
	v_alignbit_b32 v24, v4, v19, v23
	v_cmp_eq_u32_e64 s[4:5], 0, v15
	v_cndmask_b32_e32 v16, v20, v16, vcc
	s_nop 0
	v_cndmask_b32_e64 v15, v24, v4, s[4:5]
	v_cndmask_b32_e32 v4, v22, v18, vcc
	v_cndmask_b32_e64 v18, v21, v4, s[0:1]
	v_cndmask_b32_e64 v17, v17, v18, s[2:3]
	v_alignbit_b32 v21, v19, v17, v23
	v_cndmask_b32_e64 v19, v21, v19, s[4:5]
	v_bfe_u32 v24, v15, 29, 1
	v_cndmask_b32_e64 v4, v4, v16, s[0:1]
	v_alignbit_b32 v21, v15, v19, 30
	v_sub_u32_e32 v25, 0, v24
	v_cndmask_b32_e64 v4, v18, v4, s[2:3]
	v_xor_b32_e32 v21, v21, v25
	v_alignbit_b32 v16, v17, v4, v23
	v_cndmask_b32_e64 v16, v16, v17, s[4:5]
	v_ffbh_u32_e32 v18, v21
	v_alignbit_b32 v17, v19, v16, 30
	v_min_u32_e32 v18, 32, v18
	v_alignbit_b32 v4, v16, v4, 30
	v_xor_b32_e32 v17, v17, v25
	v_sub_u32_e32 v19, 31, v18
	v_xor_b32_e32 v4, v4, v25
	v_alignbit_b32 v20, v21, v17, v19
	v_alignbit_b32 v4, v17, v4, v19
	v_alignbit_b32 v16, v20, v4, 9
	v_ffbh_u32_e32 v17, v16
	v_min_u32_e32 v17, 32, v17
	v_lshrrev_b32_e32 v22, 29, v15
	v_not_b32_e32 v19, v17
	v_alignbit_b32 v4, v16, v4, v19
	v_lshlrev_b32_e32 v16, 31, v22
	v_or_b32_e32 v19, 0x33000000, v16
	v_add_lshl_u32 v17, v17, v18, 23
	v_lshrrev_b32_e32 v4, 9, v4
	v_sub_u32_e32 v17, v19, v17
	v_or_b32_e32 v16, 0.5, v16
	v_lshlrev_b32_e32 v18, 23, v18
	v_or_b32_e32 v4, v17, v4
	v_lshrrev_b32_e32 v17, 9, v20
	v_sub_u32_e32 v16, v16, v18
	v_or_b32_e32 v16, v17, v16
	v_mul_f32_e32 v17, 0x3fc90fda, v16
	v_fma_f32 v18, v16, s25, -v17
	v_fmac_f32_e32 v18, 0x33a22168, v16
	v_fmac_f32_e32 v18, 0x3fc90fda, v4
	v_lshrrev_b32_e32 v15, 30, v15
	v_add_f32_e32 v4, v17, v18
	v_add_u32_e32 v15, v24, v15
.LBB10_6:                               ;   in Loop: Header=BB10_4 Depth=1
	s_andn2_saveexec_b64 s[0:1], s[12:13]
	s_cbranch_execz .LBB10_3
; %bb.7:                                ;   in Loop: Header=BB10_4 Depth=1
	v_mul_f32_e64 v4, |v13|, s26
	v_rndne_f32_e32 v16, v4
	v_cvt_i32_f32_e32 v15, v16
	v_fma_f32 v4, v16, s27, |v13|
	v_fmac_f32_e32 v4, 0xb3a22168, v16
	v_fmac_f32_e32 v4, 0xa7c234c4, v16
	s_branch .LBB10_3
.LBB10_8:
	v_mov_b32_e32 v0, 0
	v_mov_b32_e32 v1, v0
.LBB10_9:
	s_cmp_ge_i32 s14, s7
	s_cbranch_scc1 .LBB10_16
; %bb.10:
	s_abs_i32 s0, s6
	v_cvt_f32_u32_e32 v4, s0
	s_abs_i32 s16, s7
	v_cvt_f32_u32_e32 v9, s16
	v_sub_u32_e32 v5, s6, v2
	v_rcp_iflag_f32_e32 v4, v4
	v_sub_u32_e32 v8, 0, v5
	s_sub_i32 s1, 0, s0
	v_ashrrev_i32_e32 v7, 31, v5
	v_mul_f32_e32 v4, 0x4f7ffffe, v4
	v_cvt_u32_f32_e32 v4, v4
	v_max_i32_e32 v5, v5, v8
	v_rcp_iflag_f32_e32 v8, v9
	s_brev_b32 s18, 18
	v_mul_lo_u32 v9, s1, v4
	v_mul_hi_u32 v9, v4, v9
	v_add_u32_e32 v4, v4, v9
	v_mul_hi_u32 v4, v5, v4
	v_mul_lo_u32 v4, v4, s0
	v_sub_u32_e32 v4, v5, v4
	v_subrev_u32_e32 v5, s0, v4
	v_cmp_le_u32_e32 vcc, s0, v4
	s_mov_b32 s19, 0xfe5163ab
	s_mov_b32 s20, 0x3c439041
	v_cndmask_b32_e32 v4, v4, v5, vcc
	v_subrev_u32_e32 v5, s0, v4
	v_cmp_le_u32_e32 vcc, s0, v4
	s_sub_i32 s0, 0, s16
	s_mov_b32 s21, 0xdb629599
	v_cndmask_b32_e32 v4, v4, v5, vcc
	v_mul_f32_e32 v5, 0x4f7ffffe, v8
	v_cvt_u32_f32_e32 v5, v5
	v_xor_b32_e32 v4, v4, v7
	v_sub_u32_e32 v4, v4, v7
	v_mul_lo_u32 v7, v4, s14
	v_readfirstlane_b32 s1, v5
	s_mul_i32 s0, s0, s1
	s_mul_hi_u32 s0, s1, s0
	s_add_i32 s17, s1, s0
	s_not_b32 s0, s15
	s_add_i32 s15, s0, s7
	v_mov_b32_e32 v5, 0
	s_mov_b32 s22, 0xf534ddc0
	s_mov_b32 s23, 0xfc2757d1
	;; [unrolled: 1-line block ×7, first 2 shown]
	v_mov_b32_e32 v8, 0x3c0881c4
	v_mov_b32_e32 v9, 0xbab64f3b
	s_brev_b32 s29, 1
	s_movk_i32 s30, 0x1f8
	v_not_b32_e32 v10, 63
	v_not_b32_e32 v11, 31
	v_mov_b32_e32 v12, 0x7fc00000
                                        ; implicit-def: $vgpr4
                                        ; implicit-def: $vgpr4
	;; [unrolled: 1-line block ×3, first 2 shown]
	s_branch .LBB10_12
.LBB10_11:                              ;   in Loop: Header=BB10_12 Depth=1
	s_or_b64 exec, exec, s[0:1]
	s_abs_i32 s1, s15
	s_mul_hi_u32 s2, s1, s17
	s_mul_i32 s2, s2, s16
	s_sub_i32 s1, s1, s2
	s_ashr_i32 s0, s15, 31
	s_sub_i32 s2, s1, s16
	s_cmp_ge_u32 s1, s16
	s_cselect_b32 s1, s2, s1
	s_sub_i32 s2, s1, s16
	s_cmp_ge_u32 s1, s16
	s_cselect_b32 s1, s2, s1
	s_xor_b32 s1, s1, s0
	s_sub_i32 s0, s1, s0
	v_add_u32_e32 v16, s0, v7
	v_ashrrev_i32_e32 v17, 31, v16
	s_waitcnt lgkmcnt(0)
	v_lshl_add_u64 v[16:17], v[16:17], 3, s[8:9]
	global_load_dwordx2 v[16:17], v[16:17], off
	v_mul_f32_e32 v18, v4, v4
	v_fmamk_f32 v20, v18, 0xb94c1982, v8
	v_fmamk_f32 v21, v18, 0x37d75334, v9
	v_fmaak_f32 v20, v18, v20, 0xbe2aaa9d
	v_fmaak_f32 v21, v18, v21, 0x3d2aabf7
	v_lshlrev_b32_e32 v19, 30, v15
	v_and_b32_e32 v15, 1, v15
	v_mul_f32_e32 v20, v18, v20
	v_fmaak_f32 v21, v18, v21, 0xbf000004
	v_fmac_f32_e32 v4, v4, v20
	v_fma_f32 v18, v18, v21, 1.0
	v_cmp_eq_u32_e32 vcc, 0, v15
	v_xor_b32_e32 v14, v14, v13
	v_and_b32_e32 v22, 0x80000000, v19
	v_cndmask_b32_e32 v15, v18, v4, vcc
	v_xor_b32_e32 v4, 0x80000000, v4
	v_cndmask_b32_e32 v4, v4, v18, vcc
	v_xor_b32_e32 v14, v14, v15
	v_bitop3_b32 v4, v4, v19, s29 bitop3:0x78
	v_cmp_class_f32_e64 vcc, v13, s30
	v_xor_b32_e32 v14, v14, v22
	s_add_i32 s14, s14, 1
	v_cndmask_b32_e32 v4, v12, v4, vcc
	v_cndmask_b32_e32 v14, v12, v14, vcc
	s_add_i32 s15, s15, -1
	s_cmp_ge_i32 s14, s7
	s_waitcnt vmcnt(0)
	v_pk_mul_f32 v[18:19], v[16:17], v[4:5] op_sel_hi:[1,0]
	s_nop 0
	v_pk_fma_f32 v[20:21], v[16:17], v[14:15], v[18:19] op_sel:[1,0,0] op_sel_hi:[0,1,1]
	v_pk_fma_f32 v[14:15], v[16:17], v[14:15], v[18:19] op_sel:[1,0,0] op_sel_hi:[0,0,1] neg_lo:[0,0,1] neg_hi:[0,0,1]
	v_mov_b32_e32 v21, v15
	v_pk_add_f32 v[0:1], v[0:1], v[20:21]
	s_cbranch_scc1 .LBB10_16
.LBB10_12:                              ; =>This Inner Loop Header: Depth=1
	v_cvt_f32_i32_e32 v4, s14
                                        ; implicit-def: $vgpr15
	v_mul_f32_e32 v13, v6, v4
	v_and_b32_e32 v14, 0x7fffffff, v13
	v_cmp_nlt_f32_e64 s[0:1], |v13|, s18
                                        ; implicit-def: $vgpr4
	s_and_saveexec_b64 s[2:3], s[0:1]
	s_xor_b64 s[12:13], exec, s[2:3]
	s_cbranch_execz .LBB10_14
; %bb.13:                               ;   in Loop: Header=BB10_12 Depth=1
	v_lshrrev_b32_e32 v4, 23, v14
	v_add_u32_e32 v4, 0xffffff88, v4
	v_cmp_lt_u32_e32 vcc, 63, v4
	s_nop 1
	v_cndmask_b32_e32 v15, 0, v10, vcc
	v_add_u32_e32 v4, v15, v4
	v_cmp_lt_u32_e64 s[0:1], 31, v4
	s_nop 1
	v_cndmask_b32_e64 v15, 0, v11, s[0:1]
	v_add_u32_e32 v4, v15, v4
	v_cmp_lt_u32_e64 s[2:3], 31, v4
	s_nop 1
	v_cndmask_b32_e64 v15, 0, v11, s[2:3]
	v_add_u32_e32 v15, v15, v4
	v_and_b32_e32 v4, 0x7fffff, v14
	v_or_b32_e32 v28, 0x800000, v4
	v_mad_u64_u32 v[16:17], s[4:5], v28, s19, 0
	v_mov_b32_e32 v4, v17
	v_mad_u64_u32 v[18:19], s[4:5], v28, s20, v[4:5]
	v_mov_b32_e32 v4, v19
	;; [unrolled: 2-line block ×6, first 2 shown]
	v_mad_u64_u32 v[28:29], s[4:5], v28, s25, v[4:5]
	v_cndmask_b32_e32 v17, v26, v22, vcc
	v_cndmask_b32_e32 v4, v28, v24, vcc
	;; [unrolled: 1-line block ×3, first 2 shown]
	v_cndmask_b32_e64 v19, v4, v17, s[0:1]
	v_cndmask_b32_e64 v4, v21, v4, s[0:1]
	v_cndmask_b32_e32 v21, v24, v20, vcc
	v_cndmask_b32_e64 v17, v17, v21, s[0:1]
	v_cndmask_b32_e64 v4, v4, v19, s[2:3]
	;; [unrolled: 1-line block ×3, first 2 shown]
	v_sub_u32_e32 v23, 32, v15
	v_alignbit_b32 v24, v4, v19, v23
	v_cmp_eq_u32_e64 s[4:5], 0, v15
	v_cndmask_b32_e32 v16, v20, v16, vcc
	s_nop 0
	v_cndmask_b32_e64 v15, v24, v4, s[4:5]
	v_cndmask_b32_e32 v4, v22, v18, vcc
	v_cndmask_b32_e64 v18, v21, v4, s[0:1]
	v_cndmask_b32_e64 v17, v17, v18, s[2:3]
	v_alignbit_b32 v21, v19, v17, v23
	v_cndmask_b32_e64 v19, v21, v19, s[4:5]
	v_bfe_u32 v24, v15, 29, 1
	v_cndmask_b32_e64 v4, v4, v16, s[0:1]
	v_alignbit_b32 v21, v15, v19, 30
	v_sub_u32_e32 v25, 0, v24
	v_cndmask_b32_e64 v4, v18, v4, s[2:3]
	v_xor_b32_e32 v21, v21, v25
	v_alignbit_b32 v16, v17, v4, v23
	v_cndmask_b32_e64 v16, v16, v17, s[4:5]
	v_ffbh_u32_e32 v18, v21
	v_alignbit_b32 v17, v19, v16, 30
	v_min_u32_e32 v18, 32, v18
	v_alignbit_b32 v4, v16, v4, 30
	v_xor_b32_e32 v17, v17, v25
	v_sub_u32_e32 v19, 31, v18
	v_xor_b32_e32 v4, v4, v25
	v_alignbit_b32 v20, v21, v17, v19
	v_alignbit_b32 v4, v17, v4, v19
	;; [unrolled: 1-line block ×3, first 2 shown]
	v_ffbh_u32_e32 v17, v16
	v_min_u32_e32 v17, 32, v17
	v_lshrrev_b32_e32 v22, 29, v15
	v_not_b32_e32 v19, v17
	v_alignbit_b32 v4, v16, v4, v19
	v_lshlrev_b32_e32 v16, 31, v22
	v_or_b32_e32 v19, 0x33000000, v16
	v_add_lshl_u32 v17, v17, v18, 23
	v_lshrrev_b32_e32 v4, 9, v4
	v_sub_u32_e32 v17, v19, v17
	v_or_b32_e32 v16, 0.5, v16
	v_lshlrev_b32_e32 v18, 23, v18
	v_or_b32_e32 v4, v17, v4
	v_lshrrev_b32_e32 v17, 9, v20
	v_sub_u32_e32 v16, v16, v18
	v_or_b32_e32 v16, v17, v16
	v_mul_f32_e32 v17, 0x3fc90fda, v16
	v_fma_f32 v18, v16, s26, -v17
	v_fmac_f32_e32 v18, 0x33a22168, v16
	v_fmac_f32_e32 v18, 0x3fc90fda, v4
	v_lshrrev_b32_e32 v15, 30, v15
	v_add_f32_e32 v4, v17, v18
	v_add_u32_e32 v15, v24, v15
.LBB10_14:                              ;   in Loop: Header=BB10_12 Depth=1
	s_andn2_saveexec_b64 s[0:1], s[12:13]
	s_cbranch_execz .LBB10_11
; %bb.15:                               ;   in Loop: Header=BB10_12 Depth=1
	v_mul_f32_e64 v4, |v13|, s27
	v_rndne_f32_e32 v16, v4
	v_cvt_i32_f32_e32 v15, v16
	v_fma_f32 v4, v16, s28, |v13|
	v_fmac_f32_e32 v4, 0xb3a22168, v16
	v_fmac_f32_e32 v4, 0xa7c234c4, v16
	s_branch .LBB10_11
.LBB10_16:
	v_mad_u64_u32 v[2:3], s[0:1], v3, s6, v[2:3]
	s_waitcnt lgkmcnt(0)
	v_mov_b32_e32 v4, s10
	v_mov_b32_e32 v5, s11
	v_ashrrev_i32_e32 v3, 31, v2
	v_lshl_add_u64 v[2:3], v[2:3], 3, v[4:5]
	global_store_dwordx2 v[2:3], v[0:1], off
.LBB10_17:
	s_endpgm
	.section	.rodata,"a",@progbits
	.p2align	6, 0x0
	.amdhsa_kernel _Z10iDFT2D1gpuPN6thrust23THRUST_200600_302600_NS7complexIfEES3_ii
		.amdhsa_group_segment_fixed_size 0
		.amdhsa_private_segment_fixed_size 0
		.amdhsa_kernarg_size 280
		.amdhsa_user_sgpr_count 2
		.amdhsa_user_sgpr_dispatch_ptr 0
		.amdhsa_user_sgpr_queue_ptr 0
		.amdhsa_user_sgpr_kernarg_segment_ptr 1
		.amdhsa_user_sgpr_dispatch_id 0
		.amdhsa_user_sgpr_kernarg_preload_length 0
		.amdhsa_user_sgpr_kernarg_preload_offset 0
		.amdhsa_user_sgpr_private_segment_size 0
		.amdhsa_uses_dynamic_stack 0
		.amdhsa_enable_private_segment 0
		.amdhsa_system_sgpr_workgroup_id_x 1
		.amdhsa_system_sgpr_workgroup_id_y 1
		.amdhsa_system_sgpr_workgroup_id_z 0
		.amdhsa_system_sgpr_workgroup_info 0
		.amdhsa_system_vgpr_workitem_id 1
		.amdhsa_next_free_vgpr 30
		.amdhsa_next_free_sgpr 31
		.amdhsa_accum_offset 32
		.amdhsa_reserve_vcc 1
		.amdhsa_float_round_mode_32 0
		.amdhsa_float_round_mode_16_64 0
		.amdhsa_float_denorm_mode_32 3
		.amdhsa_float_denorm_mode_16_64 3
		.amdhsa_dx10_clamp 1
		.amdhsa_ieee_mode 1
		.amdhsa_fp16_overflow 0
		.amdhsa_tg_split 0
		.amdhsa_exception_fp_ieee_invalid_op 0
		.amdhsa_exception_fp_denorm_src 0
		.amdhsa_exception_fp_ieee_div_zero 0
		.amdhsa_exception_fp_ieee_overflow 0
		.amdhsa_exception_fp_ieee_underflow 0
		.amdhsa_exception_fp_ieee_inexact 0
		.amdhsa_exception_int_div_zero 0
	.end_amdhsa_kernel
	.text
.Lfunc_end10:
	.size	_Z10iDFT2D1gpuPN6thrust23THRUST_200600_302600_NS7complexIfEES3_ii, .Lfunc_end10-_Z10iDFT2D1gpuPN6thrust23THRUST_200600_302600_NS7complexIfEES3_ii
                                        ; -- End function
	.set _Z10iDFT2D1gpuPN6thrust23THRUST_200600_302600_NS7complexIfEES3_ii.num_vgpr, 30
	.set _Z10iDFT2D1gpuPN6thrust23THRUST_200600_302600_NS7complexIfEES3_ii.num_agpr, 0
	.set _Z10iDFT2D1gpuPN6thrust23THRUST_200600_302600_NS7complexIfEES3_ii.numbered_sgpr, 31
	.set _Z10iDFT2D1gpuPN6thrust23THRUST_200600_302600_NS7complexIfEES3_ii.num_named_barrier, 0
	.set _Z10iDFT2D1gpuPN6thrust23THRUST_200600_302600_NS7complexIfEES3_ii.private_seg_size, 0
	.set _Z10iDFT2D1gpuPN6thrust23THRUST_200600_302600_NS7complexIfEES3_ii.uses_vcc, 1
	.set _Z10iDFT2D1gpuPN6thrust23THRUST_200600_302600_NS7complexIfEES3_ii.uses_flat_scratch, 0
	.set _Z10iDFT2D1gpuPN6thrust23THRUST_200600_302600_NS7complexIfEES3_ii.has_dyn_sized_stack, 0
	.set _Z10iDFT2D1gpuPN6thrust23THRUST_200600_302600_NS7complexIfEES3_ii.has_recursion, 0
	.set _Z10iDFT2D1gpuPN6thrust23THRUST_200600_302600_NS7complexIfEES3_ii.has_indirect_call, 0
	.section	.AMDGPU.csdata,"",@progbits
; Kernel info:
; codeLenInByte = 2472
; TotalNumSgprs: 37
; NumVgprs: 30
; NumAgprs: 0
; TotalNumVgprs: 30
; ScratchSize: 0
; MemoryBound: 0
; FloatMode: 240
; IeeeMode: 1
; LDSByteSize: 0 bytes/workgroup (compile time only)
; SGPRBlocks: 4
; VGPRBlocks: 3
; NumSGPRsForWavesPerEU: 37
; NumVGPRsForWavesPerEU: 30
; AccumOffset: 32
; Occupancy: 8
; WaveLimiterHint : 0
; COMPUTE_PGM_RSRC2:SCRATCH_EN: 0
; COMPUTE_PGM_RSRC2:USER_SGPR: 2
; COMPUTE_PGM_RSRC2:TRAP_HANDLER: 0
; COMPUTE_PGM_RSRC2:TGID_X_EN: 1
; COMPUTE_PGM_RSRC2:TGID_Y_EN: 1
; COMPUTE_PGM_RSRC2:TGID_Z_EN: 0
; COMPUTE_PGM_RSRC2:TIDIG_COMP_CNT: 1
; COMPUTE_PGM_RSRC3_GFX90A:ACCUM_OFFSET: 7
; COMPUTE_PGM_RSRC3_GFX90A:TG_SPLIT: 0
	.text
	.protected	_Z10iDFT2D2gpuPN6thrust23THRUST_200600_302600_NS7complexIfEEPfii ; -- Begin function _Z10iDFT2D2gpuPN6thrust23THRUST_200600_302600_NS7complexIfEEPfii
	.globl	_Z10iDFT2D2gpuPN6thrust23THRUST_200600_302600_NS7complexIfEEPfii
	.p2align	8
	.type	_Z10iDFT2D2gpuPN6thrust23THRUST_200600_302600_NS7complexIfEEPfii,@function
_Z10iDFT2D2gpuPN6thrust23THRUST_200600_302600_NS7complexIfEEPfii: ; @_Z10iDFT2D2gpuPN6thrust23THRUST_200600_302600_NS7complexIfEEPfii
; %bb.0:
	s_load_dword s4, s[0:1], 0x24
	s_load_dwordx2 s[6:7], s[0:1], 0x10
	v_bfe_u32 v1, v0, 10, 10
	v_and_b32_e32 v0, 0x3ff, v0
	s_waitcnt lgkmcnt(0)
	s_lshr_b32 s5, s4, 16
	s_mul_i32 s3, s3, s5
	v_add_u32_e32 v2, s3, v1
	s_and_b32 s3, s4, 0xffff
	s_mul_i32 s2, s2, s3
	v_add_u32_e32 v3, s2, v0
	v_cmp_gt_i32_e32 vcc, s6, v2
	v_cmp_gt_i32_e64 s[2:3], s7, v3
	s_and_b64 s[2:3], vcc, s[2:3]
	s_and_saveexec_b64 s[4:5], s[2:3]
	s_cbranch_execz .LBB11_10
; %bb.1:
	s_load_dwordx4 s[8:11], s[0:1], 0x0
	s_cmp_lt_i32 s7, 1
	s_cbranch_scc1 .LBB11_8
; %bb.2:
	v_cvt_f32_i32_e32 v0, v3
	v_cvt_f32_i32_e32 v1, s7
	v_mul_lo_u32 v4, v2, s7
	s_mov_b32 s14, 0
	s_brev_b32 s15, 18
	v_div_scale_f32 v5, s[0:1], v1, v1, v0
	v_rcp_f32_e32 v6, v5
	v_div_scale_f32 v7, vcc, v0, v1, v0
	s_mov_b32 s16, 0xfe5163ab
	v_fma_f32 v8, -v5, v6, 1.0
	v_fmac_f32_e32 v6, v8, v6
	v_mul_f32_e32 v8, v7, v6
	v_fma_f32 v9, -v5, v8, v7
	v_fmac_f32_e32 v8, v9, v6
	v_fma_f32 v5, -v5, v8, v7
	v_div_fmas_f32 v5, v5, v6, v8
	v_div_fixup_f32 v0, v5, v1, v0
	v_mul_f32_e32 v5, 0x40c90fdb, v0
	v_mov_b32_e32 v1, 0
	s_mov_b32 s17, 0x3c439041
	s_mov_b32 s18, 0xdb629599
	;; [unrolled: 1-line block ×9, first 2 shown]
	v_mov_b32_e32 v7, 0x3c0881c4
	v_mov_b32_e32 v8, 0xbab64f3b
	s_brev_b32 s26, 1
	s_movk_i32 s27, 0x1f8
	v_not_b32_e32 v9, 63
	v_not_b32_e32 v10, 31
	v_mov_b32_e32 v11, 0x7fc00000
	v_mov_b32_e32 v6, 0
                                        ; implicit-def: $vgpr0
                                        ; implicit-def: $vgpr0
	;; [unrolled: 1-line block ×3, first 2 shown]
	s_branch .LBB11_4
.LBB11_3:                               ;   in Loop: Header=BB11_4 Depth=1
	s_or_b64 exec, exec, s[0:1]
	v_add_u32_e32 v16, s14, v4
	v_ashrrev_i32_e32 v17, 31, v16
	s_waitcnt lgkmcnt(0)
	v_lshl_add_u64 v[16:17], v[16:17], 3, s[8:9]
	global_load_dwordx2 v[16:17], v[16:17], off
	v_mul_f32_e32 v15, v0, v0
	v_fmamk_f32 v19, v15, 0xb94c1982, v7
	v_fmamk_f32 v20, v15, 0x37d75334, v8
	v_fmaak_f32 v19, v15, v19, 0xbe2aaa9d
	v_fmaak_f32 v20, v15, v20, 0x3d2aabf7
	v_lshlrev_b32_e32 v18, 30, v14
	v_and_b32_e32 v14, 1, v14
	v_mul_f32_e32 v19, v15, v19
	v_fmaak_f32 v20, v15, v20, 0xbf000004
	v_fmac_f32_e32 v0, v0, v19
	v_fma_f32 v15, v15, v20, 1.0
	v_cmp_eq_u32_e32 vcc, 0, v14
	v_xor_b32_e32 v13, v13, v12
	v_and_b32_e32 v21, 0x80000000, v18
	v_cndmask_b32_e32 v14, v15, v0, vcc
	v_xor_b32_e32 v0, 0x80000000, v0
	v_xor_b32_e32 v13, v13, v14
	v_cndmask_b32_e32 v0, v0, v15, vcc
	v_xor_b32_e32 v13, v13, v21
	v_cmp_class_f32_e64 vcc, v12, s27
	v_bitop3_b32 v0, v0, v18, s26 bitop3:0x78
	s_add_i32 s14, s14, 1
	v_cndmask_b32_e32 v12, v11, v13, vcc
	v_cndmask_b32_e32 v0, v11, v0, vcc
	s_cmp_eq_u32 s7, s14
	s_waitcnt vmcnt(0)
	v_mul_f32_e32 v12, v17, v12
	v_fma_f32 v0, v16, v0, -v12
	v_add_f32_e32 v6, v6, v0
	s_cbranch_scc1 .LBB11_9
.LBB11_4:                               ; =>This Inner Loop Header: Depth=1
	v_cvt_f32_u32_e32 v0, s14
                                        ; implicit-def: $vgpr14
	v_mul_f32_e32 v12, v5, v0
	v_and_b32_e32 v13, 0x7fffffff, v12
	v_cmp_nlt_f32_e64 s[0:1], |v12|, s15
                                        ; implicit-def: $vgpr0
	s_and_saveexec_b64 s[2:3], s[0:1]
	s_xor_b64 s[12:13], exec, s[2:3]
	s_cbranch_execz .LBB11_6
; %bb.5:                                ;   in Loop: Header=BB11_4 Depth=1
	v_lshrrev_b32_e32 v0, 23, v13
	v_add_u32_e32 v0, 0xffffff88, v0
	v_cmp_lt_u32_e32 vcc, 63, v0
	s_nop 1
	v_cndmask_b32_e32 v14, 0, v9, vcc
	v_add_u32_e32 v0, v14, v0
	v_cmp_lt_u32_e64 s[0:1], 31, v0
	s_nop 1
	v_cndmask_b32_e64 v14, 0, v10, s[0:1]
	v_add_u32_e32 v0, v14, v0
	v_cmp_lt_u32_e64 s[2:3], 31, v0
	s_nop 1
	v_cndmask_b32_e64 v14, 0, v10, s[2:3]
	v_add_u32_e32 v28, v14, v0
	v_and_b32_e32 v0, 0x7fffff, v13
	v_or_b32_e32 v26, 0x800000, v0
	v_mad_u64_u32 v[14:15], s[4:5], v26, s16, 0
	v_mov_b32_e32 v0, v15
	v_mad_u64_u32 v[16:17], s[4:5], v26, s17, v[0:1]
	v_mov_b32_e32 v0, v17
	;; [unrolled: 2-line block ×6, first 2 shown]
	v_mad_u64_u32 v[26:27], s[4:5], v26, s22, v[0:1]
	v_cndmask_b32_e32 v15, v24, v20, vcc
	v_cndmask_b32_e32 v0, v26, v22, vcc
	;; [unrolled: 1-line block ×3, first 2 shown]
	v_cndmask_b32_e64 v17, v0, v15, s[0:1]
	v_cndmask_b32_e64 v0, v19, v0, s[0:1]
	v_cndmask_b32_e32 v19, v22, v18, vcc
	v_cndmask_b32_e64 v15, v15, v19, s[0:1]
	v_cndmask_b32_e64 v0, v0, v17, s[2:3]
	;; [unrolled: 1-line block ×3, first 2 shown]
	v_sub_u32_e32 v21, 32, v28
	v_alignbit_b32 v22, v0, v17, v21
	v_cmp_eq_u32_e64 s[4:5], 0, v28
	v_cndmask_b32_e32 v14, v18, v14, vcc
	s_nop 0
	v_cndmask_b32_e64 v22, v22, v0, s[4:5]
	v_cndmask_b32_e32 v0, v20, v16, vcc
	v_cndmask_b32_e64 v16, v19, v0, s[0:1]
	v_cndmask_b32_e64 v15, v15, v16, s[2:3]
	v_alignbit_b32 v19, v17, v15, v21
	v_cndmask_b32_e64 v17, v19, v17, s[4:5]
	v_bfe_u32 v23, v22, 29, 1
	v_cndmask_b32_e64 v0, v0, v14, s[0:1]
	v_alignbit_b32 v19, v22, v17, 30
	v_sub_u32_e32 v24, 0, v23
	v_cndmask_b32_e64 v0, v16, v0, s[2:3]
	v_xor_b32_e32 v19, v19, v24
	v_alignbit_b32 v14, v15, v0, v21
	v_cndmask_b32_e64 v14, v14, v15, s[4:5]
	v_ffbh_u32_e32 v16, v19
	v_alignbit_b32 v15, v17, v14, 30
	v_min_u32_e32 v16, 32, v16
	v_alignbit_b32 v0, v14, v0, 30
	v_xor_b32_e32 v15, v15, v24
	v_sub_u32_e32 v17, 31, v16
	v_xor_b32_e32 v0, v0, v24
	v_alignbit_b32 v18, v19, v15, v17
	v_alignbit_b32 v0, v15, v0, v17
	v_alignbit_b32 v14, v18, v0, 9
	v_ffbh_u32_e32 v15, v14
	v_min_u32_e32 v15, 32, v15
	v_lshrrev_b32_e32 v20, 29, v22
	v_not_b32_e32 v17, v15
	v_alignbit_b32 v0, v14, v0, v17
	v_lshlrev_b32_e32 v14, 31, v20
	v_or_b32_e32 v17, 0x33000000, v14
	v_add_lshl_u32 v15, v15, v16, 23
	v_lshrrev_b32_e32 v0, 9, v0
	v_sub_u32_e32 v15, v17, v15
	v_or_b32_e32 v14, 0.5, v14
	v_lshlrev_b32_e32 v16, 23, v16
	v_or_b32_e32 v0, v15, v0
	v_lshrrev_b32_e32 v15, 9, v18
	v_sub_u32_e32 v14, v14, v16
	v_or_b32_e32 v14, v15, v14
	v_mul_f32_e32 v15, 0x3fc90fda, v14
	v_fma_f32 v16, v14, s23, -v15
	v_fmac_f32_e32 v16, 0x33a22168, v14
	v_fmac_f32_e32 v16, 0x3fc90fda, v0
	v_lshrrev_b32_e32 v14, 30, v22
	v_add_f32_e32 v0, v15, v16
	v_add_u32_e32 v14, v23, v14
.LBB11_6:                               ;   in Loop: Header=BB11_4 Depth=1
	s_andn2_saveexec_b64 s[0:1], s[12:13]
	s_cbranch_execz .LBB11_3
; %bb.7:                                ;   in Loop: Header=BB11_4 Depth=1
	v_mul_f32_e64 v0, |v12|, s24
	v_rndne_f32_e32 v15, v0
	v_cvt_i32_f32_e32 v14, v15
	v_fma_f32 v0, v15, s25, |v12|
	v_fmac_f32_e32 v0, 0xb3a22168, v15
	v_fmac_f32_e32 v0, 0xa7c234c4, v15
	s_branch .LBB11_3
.LBB11_8:
	v_mov_b32_e32 v6, 0
.LBB11_9:
	v_mad_u64_u32 v[2:3], s[0:1], v3, s6, v[2:3]
	s_waitcnt lgkmcnt(0)
	v_mov_b32_e32 v0, s10
	v_mov_b32_e32 v1, s11
	v_ashrrev_i32_e32 v3, 31, v2
	v_lshl_add_u64 v[0:1], v[2:3], 2, v[0:1]
	global_store_dword v[0:1], v6, off
.LBB11_10:
	s_endpgm
	.section	.rodata,"a",@progbits
	.p2align	6, 0x0
	.amdhsa_kernel _Z10iDFT2D2gpuPN6thrust23THRUST_200600_302600_NS7complexIfEEPfii
		.amdhsa_group_segment_fixed_size 0
		.amdhsa_private_segment_fixed_size 0
		.amdhsa_kernarg_size 280
		.amdhsa_user_sgpr_count 2
		.amdhsa_user_sgpr_dispatch_ptr 0
		.amdhsa_user_sgpr_queue_ptr 0
		.amdhsa_user_sgpr_kernarg_segment_ptr 1
		.amdhsa_user_sgpr_dispatch_id 0
		.amdhsa_user_sgpr_kernarg_preload_length 0
		.amdhsa_user_sgpr_kernarg_preload_offset 0
		.amdhsa_user_sgpr_private_segment_size 0
		.amdhsa_uses_dynamic_stack 0
		.amdhsa_enable_private_segment 0
		.amdhsa_system_sgpr_workgroup_id_x 1
		.amdhsa_system_sgpr_workgroup_id_y 1
		.amdhsa_system_sgpr_workgroup_id_z 0
		.amdhsa_system_sgpr_workgroup_info 0
		.amdhsa_system_vgpr_workitem_id 1
		.amdhsa_next_free_vgpr 29
		.amdhsa_next_free_sgpr 28
		.amdhsa_accum_offset 32
		.amdhsa_reserve_vcc 1
		.amdhsa_float_round_mode_32 0
		.amdhsa_float_round_mode_16_64 0
		.amdhsa_float_denorm_mode_32 3
		.amdhsa_float_denorm_mode_16_64 3
		.amdhsa_dx10_clamp 1
		.amdhsa_ieee_mode 1
		.amdhsa_fp16_overflow 0
		.amdhsa_tg_split 0
		.amdhsa_exception_fp_ieee_invalid_op 0
		.amdhsa_exception_fp_denorm_src 0
		.amdhsa_exception_fp_ieee_div_zero 0
		.amdhsa_exception_fp_ieee_overflow 0
		.amdhsa_exception_fp_ieee_underflow 0
		.amdhsa_exception_fp_ieee_inexact 0
		.amdhsa_exception_int_div_zero 0
	.end_amdhsa_kernel
	.text
.Lfunc_end11:
	.size	_Z10iDFT2D2gpuPN6thrust23THRUST_200600_302600_NS7complexIfEEPfii, .Lfunc_end11-_Z10iDFT2D2gpuPN6thrust23THRUST_200600_302600_NS7complexIfEEPfii
                                        ; -- End function
	.set _Z10iDFT2D2gpuPN6thrust23THRUST_200600_302600_NS7complexIfEEPfii.num_vgpr, 29
	.set _Z10iDFT2D2gpuPN6thrust23THRUST_200600_302600_NS7complexIfEEPfii.num_agpr, 0
	.set _Z10iDFT2D2gpuPN6thrust23THRUST_200600_302600_NS7complexIfEEPfii.numbered_sgpr, 28
	.set _Z10iDFT2D2gpuPN6thrust23THRUST_200600_302600_NS7complexIfEEPfii.num_named_barrier, 0
	.set _Z10iDFT2D2gpuPN6thrust23THRUST_200600_302600_NS7complexIfEEPfii.private_seg_size, 0
	.set _Z10iDFT2D2gpuPN6thrust23THRUST_200600_302600_NS7complexIfEEPfii.uses_vcc, 1
	.set _Z10iDFT2D2gpuPN6thrust23THRUST_200600_302600_NS7complexIfEEPfii.uses_flat_scratch, 0
	.set _Z10iDFT2D2gpuPN6thrust23THRUST_200600_302600_NS7complexIfEEPfii.has_dyn_sized_stack, 0
	.set _Z10iDFT2D2gpuPN6thrust23THRUST_200600_302600_NS7complexIfEEPfii.has_recursion, 0
	.set _Z10iDFT2D2gpuPN6thrust23THRUST_200600_302600_NS7complexIfEEPfii.has_indirect_call, 0
	.section	.AMDGPU.csdata,"",@progbits
; Kernel info:
; codeLenInByte = 1208
; TotalNumSgprs: 34
; NumVgprs: 29
; NumAgprs: 0
; TotalNumVgprs: 29
; ScratchSize: 0
; MemoryBound: 0
; FloatMode: 240
; IeeeMode: 1
; LDSByteSize: 0 bytes/workgroup (compile time only)
; SGPRBlocks: 4
; VGPRBlocks: 3
; NumSGPRsForWavesPerEU: 34
; NumVGPRsForWavesPerEU: 29
; AccumOffset: 32
; Occupancy: 8
; WaveLimiterHint : 0
; COMPUTE_PGM_RSRC2:SCRATCH_EN: 0
; COMPUTE_PGM_RSRC2:USER_SGPR: 2
; COMPUTE_PGM_RSRC2:TRAP_HANDLER: 0
; COMPUTE_PGM_RSRC2:TGID_X_EN: 1
; COMPUTE_PGM_RSRC2:TGID_Y_EN: 1
; COMPUTE_PGM_RSRC2:TGID_Z_EN: 0
; COMPUTE_PGM_RSRC2:TIDIG_COMP_CNT: 1
; COMPUTE_PGM_RSRC3_GFX90A:ACCUM_OFFSET: 7
; COMPUTE_PGM_RSRC3_GFX90A:TG_SPLIT: 0
	.text
	.p2alignl 6, 3212836864
	.fill 256, 4, 3212836864
	.section	.AMDGPU.gpr_maximums,"",@progbits
	.set amdgpu.max_num_vgpr, 0
	.set amdgpu.max_num_agpr, 0
	.set amdgpu.max_num_sgpr, 0
	.text
	.type	__hip_cuid_ad1617f51440f09b,@object ; @__hip_cuid_ad1617f51440f09b
	.section	.bss,"aw",@nobits
	.globl	__hip_cuid_ad1617f51440f09b
__hip_cuid_ad1617f51440f09b:
	.byte	0                               ; 0x0
	.size	__hip_cuid_ad1617f51440f09b, 1

	.ident	"AMD clang version 22.0.0git (https://github.com/RadeonOpenCompute/llvm-project roc-7.2.4 26084 f58b06dce1f9c15707c5f808fd002e18c2accf7e)"
	.section	".note.GNU-stack","",@progbits
	.addrsig
	.addrsig_sym __hip_cuid_ad1617f51440f09b
	.amdgpu_metadata
---
amdhsa.kernels:
  - .agpr_count:     0
    .args:
      - .address_space:  global
        .offset:         0
        .size:           8
        .value_kind:     global_buffer
      - .address_space:  global
        .offset:         8
        .size:           8
        .value_kind:     global_buffer
      - .offset:         16
        .size:           4
        .value_kind:     by_value
      - .offset:         20
        .size:           4
        .value_kind:     by_value
      - .offset:         24
        .size:           4
        .value_kind:     by_value
      - .offset:         32
        .size:           4
        .value_kind:     hidden_block_count_x
      - .offset:         36
        .size:           4
        .value_kind:     hidden_block_count_y
      - .offset:         40
        .size:           4
        .value_kind:     hidden_block_count_z
      - .offset:         44
        .size:           2
        .value_kind:     hidden_group_size_x
      - .offset:         46
        .size:           2
        .value_kind:     hidden_group_size_y
      - .offset:         48
        .size:           2
        .value_kind:     hidden_group_size_z
      - .offset:         50
        .size:           2
        .value_kind:     hidden_remainder_x
      - .offset:         52
        .size:           2
        .value_kind:     hidden_remainder_y
      - .offset:         54
        .size:           2
        .value_kind:     hidden_remainder_z
      - .offset:         72
        .size:           8
        .value_kind:     hidden_global_offset_x
      - .offset:         80
        .size:           8
        .value_kind:     hidden_global_offset_y
      - .offset:         88
        .size:           8
        .value_kind:     hidden_global_offset_z
      - .offset:         96
        .size:           2
        .value_kind:     hidden_grid_dims
    .group_segment_fixed_size: 0
    .kernarg_segment_align: 8
    .kernarg_segment_size: 288
    .language:       OpenCL C
    .language_version:
      - 2
      - 0
    .max_flat_workgroup_size: 1024
    .name:           _Z17copy_to_fft_inputPVfPKfiii
    .private_segment_fixed_size: 0
    .sgpr_count:     16
    .sgpr_spill_count: 0
    .symbol:         _Z17copy_to_fft_inputPVfPKfiii.kd
    .uniform_work_group_size: 1
    .uses_dynamic_stack: false
    .vgpr_count:     7
    .vgpr_spill_count: 0
    .wavefront_size: 64
  - .agpr_count:     0
    .args:
      - .address_space:  global
        .offset:         0
        .size:           8
        .value_kind:     global_buffer
      - .address_space:  global
        .offset:         8
        .size:           8
        .value_kind:     global_buffer
      - .offset:         16
        .size:           4
        .value_kind:     by_value
      - .offset:         20
        .size:           4
        .value_kind:     by_value
      - .offset:         24
        .size:           4
        .value_kind:     by_value
      - .offset:         32
        .size:           4
        .value_kind:     hidden_block_count_x
      - .offset:         36
        .size:           4
        .value_kind:     hidden_block_count_y
      - .offset:         40
        .size:           4
        .value_kind:     hidden_block_count_z
      - .offset:         44
        .size:           2
        .value_kind:     hidden_group_size_x
      - .offset:         46
        .size:           2
        .value_kind:     hidden_group_size_y
      - .offset:         48
        .size:           2
        .value_kind:     hidden_group_size_z
      - .offset:         50
        .size:           2
        .value_kind:     hidden_remainder_x
      - .offset:         52
        .size:           2
        .value_kind:     hidden_remainder_y
      - .offset:         54
        .size:           2
        .value_kind:     hidden_remainder_z
      - .offset:         72
        .size:           8
        .value_kind:     hidden_global_offset_x
      - .offset:         80
        .size:           8
        .value_kind:     hidden_global_offset_y
      - .offset:         88
        .size:           8
        .value_kind:     hidden_global_offset_z
      - .offset:         96
        .size:           2
        .value_kind:     hidden_grid_dims
    .group_segment_fixed_size: 0
    .kernarg_segment_align: 8
    .kernarg_segment_size: 288
    .language:       OpenCL C
    .language_version:
      - 2
      - 0
    .max_flat_workgroup_size: 1024
    .name:           _Z20copy_from_fft_outputPVfPKfiii
    .private_segment_fixed_size: 0
    .sgpr_count:     16
    .sgpr_spill_count: 0
    .symbol:         _Z20copy_from_fft_outputPVfPKfiii.kd
    .uniform_work_group_size: 1
    .uses_dynamic_stack: false
    .vgpr_count:     9
    .vgpr_spill_count: 0
    .wavefront_size: 64
  - .agpr_count:     0
    .args:
      - .address_space:  global
        .offset:         0
        .size:           8
        .value_kind:     global_buffer
      - .address_space:  global
        .offset:         8
        .size:           8
        .value_kind:     global_buffer
      - .address_space:  global
        .offset:         16
        .size:           8
        .value_kind:     global_buffer
      - .address_space:  global
        .offset:         24
        .size:           8
        .value_kind:     global_buffer
      - .address_space:  global
        .offset:         32
        .size:           8
        .value_kind:     global_buffer
      - .address_space:  global
        .offset:         40
        .size:           8
        .value_kind:     global_buffer
      - .offset:         48
        .size:           4
        .value_kind:     by_value
      - .offset:         52
        .size:           4
        .value_kind:     by_value
      - .offset:         56
        .size:           4
        .value_kind:     by_value
      - .offset:         60
        .size:           4
        .value_kind:     by_value
      - .offset:         64
        .size:           4
        .value_kind:     by_value
      - .offset:         72
        .size:           4
        .value_kind:     hidden_block_count_x
      - .offset:         76
        .size:           4
        .value_kind:     hidden_block_count_y
      - .offset:         80
        .size:           4
        .value_kind:     hidden_block_count_z
      - .offset:         84
        .size:           2
        .value_kind:     hidden_group_size_x
      - .offset:         86
        .size:           2
        .value_kind:     hidden_group_size_y
      - .offset:         88
        .size:           2
        .value_kind:     hidden_group_size_z
      - .offset:         90
        .size:           2
        .value_kind:     hidden_remainder_x
      - .offset:         92
        .size:           2
        .value_kind:     hidden_remainder_y
      - .offset:         94
        .size:           2
        .value_kind:     hidden_remainder_z
      - .offset:         112
        .size:           8
        .value_kind:     hidden_global_offset_x
      - .offset:         120
        .size:           8
        .value_kind:     hidden_global_offset_y
      - .offset:         128
        .size:           8
        .value_kind:     hidden_global_offset_z
      - .offset:         136
        .size:           2
        .value_kind:     hidden_grid_dims
    .group_segment_fixed_size: 0
    .kernarg_segment_align: 8
    .kernarg_segment_size: 328
    .language:       OpenCL C
    .language_version:
      - 2
      - 0
    .max_flat_workgroup_size: 1024
    .name:           _Z21compute_point_box_idxPViPVfS2_PKfS4_S4_ffiii
    .private_segment_fixed_size: 0
    .sgpr_count:     21
    .sgpr_spill_count: 0
    .symbol:         _Z21compute_point_box_idxPViPVfS2_PKfS4_S4_ffiii.kd
    .uniform_work_group_size: 1
    .uses_dynamic_stack: false
    .vgpr_count:     16
    .vgpr_spill_count: 0
    .wavefront_size: 64
  - .agpr_count:     0
    .args:
      - .address_space:  global
        .offset:         0
        .size:           8
        .value_kind:     global_buffer
      - .address_space:  global
        .offset:         8
        .size:           8
        .value_kind:     global_buffer
      - .address_space:  global
        .offset:         16
        .size:           8
        .value_kind:     global_buffer
      - .address_space:  global
        .offset:         24
        .size:           8
        .value_kind:     global_buffer
      - .offset:         32
        .size:           4
        .value_kind:     by_value
      - .offset:         36
        .size:           4
        .value_kind:     by_value
      - .offset:         40
        .size:           4
        .value_kind:     hidden_block_count_x
      - .offset:         44
        .size:           4
        .value_kind:     hidden_block_count_y
      - .offset:         48
        .size:           4
        .value_kind:     hidden_block_count_z
      - .offset:         52
        .size:           2
        .value_kind:     hidden_group_size_x
      - .offset:         54
        .size:           2
        .value_kind:     hidden_group_size_y
      - .offset:         56
        .size:           2
        .value_kind:     hidden_group_size_z
      - .offset:         58
        .size:           2
        .value_kind:     hidden_remainder_x
      - .offset:         60
        .size:           2
        .value_kind:     hidden_remainder_y
      - .offset:         62
        .size:           2
        .value_kind:     hidden_remainder_z
      - .offset:         80
        .size:           8
        .value_kind:     hidden_global_offset_x
      - .offset:         88
        .size:           8
        .value_kind:     hidden_global_offset_y
      - .offset:         96
        .size:           8
        .value_kind:     hidden_global_offset_z
      - .offset:         104
        .size:           2
        .value_kind:     hidden_grid_dims
    .group_segment_fixed_size: 0
    .kernarg_segment_align: 8
    .kernarg_segment_size: 296
    .language:       OpenCL C
    .language_version:
      - 2
      - 0
    .max_flat_workgroup_size: 1024
    .name:           _Z18interpolate_devicePVfPKfS2_S2_ii
    .private_segment_fixed_size: 0
    .sgpr_count:     18
    .sgpr_spill_count: 0
    .symbol:         _Z18interpolate_devicePVfPKfS2_S2_ii.kd
    .uniform_work_group_size: 1
    .uses_dynamic_stack: false
    .vgpr_count:     9
    .vgpr_spill_count: 0
    .wavefront_size: 64
  - .agpr_count:     0
    .args:
      - .address_space:  global
        .offset:         0
        .size:           8
        .value_kind:     global_buffer
      - .address_space:  global
        .offset:         8
        .size:           8
        .value_kind:     global_buffer
      - .address_space:  global
        .offset:         16
        .size:           8
        .value_kind:     global_buffer
      - .address_space:  global
        .offset:         24
        .size:           8
        .value_kind:     global_buffer
      - .address_space:  global
        .offset:         32
        .size:           8
        .value_kind:     global_buffer
      - .offset:         40
        .size:           4
        .value_kind:     by_value
      - .offset:         44
        .size:           4
        .value_kind:     by_value
      - .offset:         48
        .size:           4
        .value_kind:     by_value
      - .offset:         52
        .size:           4
        .value_kind:     by_value
      - .offset:         56
        .size:           4
        .value_kind:     hidden_block_count_x
      - .offset:         60
        .size:           4
        .value_kind:     hidden_block_count_y
      - .offset:         64
        .size:           4
        .value_kind:     hidden_block_count_z
      - .offset:         68
        .size:           2
        .value_kind:     hidden_group_size_x
      - .offset:         70
        .size:           2
        .value_kind:     hidden_group_size_y
      - .offset:         72
        .size:           2
        .value_kind:     hidden_group_size_z
      - .offset:         74
        .size:           2
        .value_kind:     hidden_remainder_x
      - .offset:         76
        .size:           2
        .value_kind:     hidden_remainder_y
      - .offset:         78
        .size:           2
        .value_kind:     hidden_remainder_z
      - .offset:         96
        .size:           8
        .value_kind:     hidden_global_offset_x
      - .offset:         104
        .size:           8
        .value_kind:     hidden_global_offset_y
      - .offset:         112
        .size:           8
        .value_kind:     hidden_global_offset_z
      - .offset:         120
        .size:           2
        .value_kind:     hidden_grid_dims
    .group_segment_fixed_size: 0
    .kernarg_segment_align: 8
    .kernarg_segment_size: 312
    .language:       OpenCL C
    .language_version:
      - 2
      - 0
    .max_flat_workgroup_size: 1024
    .name:           _Z28compute_interpolated_indicesPfPKiPKfS3_S3_iiii
    .private_segment_fixed_size: 0
    .sgpr_count:     22
    .sgpr_spill_count: 0
    .symbol:         _Z28compute_interpolated_indicesPfPKiPKfS3_S3_iiii.kd
    .uniform_work_group_size: 1
    .uses_dynamic_stack: false
    .vgpr_count:     16
    .vgpr_spill_count: 0
    .wavefront_size: 64
  - .agpr_count:     0
    .args:
      - .address_space:  global
        .offset:         0
        .size:           8
        .value_kind:     global_buffer
      - .address_space:  global
        .offset:         8
        .size:           8
        .value_kind:     global_buffer
      - .address_space:  global
        .offset:         16
        .size:           8
        .value_kind:     global_buffer
      - .address_space:  global
        .offset:         24
        .size:           8
        .value_kind:     global_buffer
      - .address_space:  global
        .offset:         32
        .size:           8
        .value_kind:     global_buffer
      - .offset:         40
        .size:           4
        .value_kind:     by_value
      - .offset:         44
        .size:           4
        .value_kind:     by_value
      - .offset:         48
        .size:           4
        .value_kind:     by_value
      - .offset:         52
        .size:           4
        .value_kind:     by_value
      - .offset:         56
        .size:           4
        .value_kind:     hidden_block_count_x
      - .offset:         60
        .size:           4
        .value_kind:     hidden_block_count_y
      - .offset:         64
        .size:           4
        .value_kind:     hidden_block_count_z
      - .offset:         68
        .size:           2
        .value_kind:     hidden_group_size_x
      - .offset:         70
        .size:           2
        .value_kind:     hidden_group_size_y
      - .offset:         72
        .size:           2
        .value_kind:     hidden_group_size_z
      - .offset:         74
        .size:           2
        .value_kind:     hidden_remainder_x
      - .offset:         76
        .size:           2
        .value_kind:     hidden_remainder_y
      - .offset:         78
        .size:           2
        .value_kind:     hidden_remainder_z
      - .offset:         96
        .size:           8
        .value_kind:     hidden_global_offset_x
      - .offset:         104
        .size:           8
        .value_kind:     hidden_global_offset_y
      - .offset:         112
        .size:           8
        .value_kind:     hidden_global_offset_z
      - .offset:         120
        .size:           2
        .value_kind:     hidden_grid_dims
    .group_segment_fixed_size: 0
    .kernarg_segment_align: 8
    .kernarg_segment_size: 312
    .language:       OpenCL C
    .language_version:
      - 2
      - 0
    .max_flat_workgroup_size: 1024
    .name:           _Z25compute_potential_indicesPfPKiPKfS3_S3_iiii
    .private_segment_fixed_size: 0
    .sgpr_count:     22
    .sgpr_spill_count: 0
    .symbol:         _Z25compute_potential_indicesPfPKiPKfS3_S3_iiii.kd
    .uniform_work_group_size: 1
    .uses_dynamic_stack: false
    .vgpr_count:     19
    .vgpr_spill_count: 0
    .wavefront_size: 64
  - .agpr_count:     0
    .args:
      - .address_space:  global
        .offset:         0
        .size:           8
        .value_kind:     global_buffer
      - .offset:         8
        .size:           4
        .value_kind:     by_value
      - .offset:         12
        .size:           4
        .value_kind:     by_value
      - .offset:         16
        .size:           4
        .value_kind:     by_value
      - .offset:         20
        .size:           4
        .value_kind:     by_value
      - .offset:         24
        .size:           4
        .value_kind:     by_value
      - .offset:         32
        .size:           4
        .value_kind:     hidden_block_count_x
      - .offset:         36
        .size:           4
        .value_kind:     hidden_block_count_y
      - .offset:         40
        .size:           4
        .value_kind:     hidden_block_count_z
      - .offset:         44
        .size:           2
        .value_kind:     hidden_group_size_x
      - .offset:         46
        .size:           2
        .value_kind:     hidden_group_size_y
      - .offset:         48
        .size:           2
        .value_kind:     hidden_group_size_z
      - .offset:         50
        .size:           2
        .value_kind:     hidden_remainder_x
      - .offset:         52
        .size:           2
        .value_kind:     hidden_remainder_y
      - .offset:         54
        .size:           2
        .value_kind:     hidden_remainder_z
      - .offset:         72
        .size:           8
        .value_kind:     hidden_global_offset_x
      - .offset:         80
        .size:           8
        .value_kind:     hidden_global_offset_y
      - .offset:         88
        .size:           8
        .value_kind:     hidden_global_offset_z
      - .offset:         96
        .size:           2
        .value_kind:     hidden_grid_dims
    .group_segment_fixed_size: 0
    .kernarg_segment_align: 8
    .kernarg_segment_size: 288
    .language:       OpenCL C
    .language_version:
      - 2
      - 0
    .max_flat_workgroup_size: 1024
    .name:           _Z20compute_kernel_tildePVffffii
    .private_segment_fixed_size: 0
    .sgpr_count:     17
    .sgpr_spill_count: 0
    .symbol:         _Z20compute_kernel_tildePVffffii.kd
    .uniform_work_group_size: 1
    .uses_dynamic_stack: false
    .vgpr_count:     18
    .vgpr_spill_count: 0
    .wavefront_size: 64
  - .agpr_count:     0
    .args:
      - .address_space:  global
        .offset:         0
        .size:           8
        .value_kind:     global_buffer
      - .address_space:  global
        .offset:         8
        .size:           8
        .value_kind:     global_buffer
      - .offset:         16
        .size:           4
        .value_kind:     by_value
      - .offset:         20
        .size:           4
        .value_kind:     by_value
      - .offset:         24
        .size:           4
        .value_kind:     by_value
      - .offset:         28
        .size:           4
        .value_kind:     by_value
      - .offset:         32
        .size:           4
        .value_kind:     by_value
      - .offset:         40
        .size:           4
        .value_kind:     hidden_block_count_x
      - .offset:         44
        .size:           4
        .value_kind:     hidden_block_count_y
      - .offset:         48
        .size:           4
        .value_kind:     hidden_block_count_z
      - .offset:         52
        .size:           2
        .value_kind:     hidden_group_size_x
      - .offset:         54
        .size:           2
        .value_kind:     hidden_group_size_y
      - .offset:         56
        .size:           2
        .value_kind:     hidden_group_size_z
      - .offset:         58
        .size:           2
        .value_kind:     hidden_remainder_x
      - .offset:         60
        .size:           2
        .value_kind:     hidden_remainder_y
      - .offset:         62
        .size:           2
        .value_kind:     hidden_remainder_z
      - .offset:         80
        .size:           8
        .value_kind:     hidden_global_offset_x
      - .offset:         88
        .size:           8
        .value_kind:     hidden_global_offset_y
      - .offset:         96
        .size:           8
        .value_kind:     hidden_global_offset_z
      - .offset:         104
        .size:           2
        .value_kind:     hidden_grid_dims
    .group_segment_fixed_size: 0
    .kernarg_segment_align: 8
    .kernarg_segment_size: 296
    .language:       OpenCL C
    .language_version:
      - 2
      - 0
    .max_flat_workgroup_size: 1024
    .name:           _Z30compute_upper_and_lower_boundsPVfS0_fffii
    .private_segment_fixed_size: 0
    .sgpr_count:     18
    .sgpr_spill_count: 0
    .symbol:         _Z30compute_upper_and_lower_boundsPVfS0_fffii.kd
    .uniform_work_group_size: 1
    .uses_dynamic_stack: false
    .vgpr_count:     10
    .vgpr_spill_count: 0
    .wavefront_size: 64
  - .agpr_count:     0
    .args:
      - .address_space:  global
        .offset:         0
        .size:           8
        .value_kind:     global_buffer
      - .address_space:  global
        .offset:         8
        .size:           8
        .value_kind:     global_buffer
      - .offset:         16
        .size:           4
        .value_kind:     by_value
      - .offset:         20
        .size:           4
        .value_kind:     by_value
      - .offset:         24
        .size:           4
        .value_kind:     hidden_block_count_x
      - .offset:         28
        .size:           4
        .value_kind:     hidden_block_count_y
      - .offset:         32
        .size:           4
        .value_kind:     hidden_block_count_z
      - .offset:         36
        .size:           2
        .value_kind:     hidden_group_size_x
      - .offset:         38
        .size:           2
        .value_kind:     hidden_group_size_y
      - .offset:         40
        .size:           2
        .value_kind:     hidden_group_size_z
      - .offset:         42
        .size:           2
        .value_kind:     hidden_remainder_x
      - .offset:         44
        .size:           2
        .value_kind:     hidden_remainder_y
      - .offset:         46
        .size:           2
        .value_kind:     hidden_remainder_z
      - .offset:         64
        .size:           8
        .value_kind:     hidden_global_offset_x
      - .offset:         72
        .size:           8
        .value_kind:     hidden_global_offset_y
      - .offset:         80
        .size:           8
        .value_kind:     hidden_global_offset_z
      - .offset:         88
        .size:           2
        .value_kind:     hidden_grid_dims
    .group_segment_fixed_size: 0
    .kernarg_segment_align: 8
    .kernarg_segment_size: 280
    .language:       OpenCL C
    .language_version:
      - 2
      - 0
    .max_flat_workgroup_size: 1024
    .name:           _Z9DFT2D1gpuPfPN6thrust23THRUST_200600_302600_NS7complexIfEEii
    .private_segment_fixed_size: 0
    .sgpr_count:     33
    .sgpr_spill_count: 0
    .symbol:         _Z9DFT2D1gpuPfPN6thrust23THRUST_200600_302600_NS7complexIfEEii.kd
    .uniform_work_group_size: 1
    .uses_dynamic_stack: false
    .vgpr_count:     30
    .vgpr_spill_count: 0
    .wavefront_size: 64
  - .agpr_count:     0
    .args:
      - .address_space:  global
        .offset:         0
        .size:           8
        .value_kind:     global_buffer
      - .address_space:  global
        .offset:         8
        .size:           8
        .value_kind:     global_buffer
      - .offset:         16
        .size:           4
        .value_kind:     by_value
      - .offset:         20
        .size:           4
        .value_kind:     by_value
      - .offset:         24
        .size:           4
        .value_kind:     hidden_block_count_x
      - .offset:         28
        .size:           4
        .value_kind:     hidden_block_count_y
      - .offset:         32
        .size:           4
        .value_kind:     hidden_block_count_z
      - .offset:         36
        .size:           2
        .value_kind:     hidden_group_size_x
      - .offset:         38
        .size:           2
        .value_kind:     hidden_group_size_y
      - .offset:         40
        .size:           2
        .value_kind:     hidden_group_size_z
      - .offset:         42
        .size:           2
        .value_kind:     hidden_remainder_x
      - .offset:         44
        .size:           2
        .value_kind:     hidden_remainder_y
      - .offset:         46
        .size:           2
        .value_kind:     hidden_remainder_z
      - .offset:         64
        .size:           8
        .value_kind:     hidden_global_offset_x
      - .offset:         72
        .size:           8
        .value_kind:     hidden_global_offset_y
      - .offset:         80
        .size:           8
        .value_kind:     hidden_global_offset_z
      - .offset:         88
        .size:           2
        .value_kind:     hidden_grid_dims
    .group_segment_fixed_size: 0
    .kernarg_segment_align: 8
    .kernarg_segment_size: 280
    .language:       OpenCL C
    .language_version:
      - 2
      - 0
    .max_flat_workgroup_size: 1024
    .name:           _Z9DFT2D2gpuPN6thrust23THRUST_200600_302600_NS7complexIfEES3_ii
    .private_segment_fixed_size: 0
    .sgpr_count:     34
    .sgpr_spill_count: 0
    .symbol:         _Z9DFT2D2gpuPN6thrust23THRUST_200600_302600_NS7complexIfEES3_ii.kd
    .uniform_work_group_size: 1
    .uses_dynamic_stack: false
    .vgpr_count:     30
    .vgpr_spill_count: 0
    .wavefront_size: 64
  - .agpr_count:     0
    .args:
      - .address_space:  global
        .offset:         0
        .size:           8
        .value_kind:     global_buffer
      - .address_space:  global
        .offset:         8
        .size:           8
        .value_kind:     global_buffer
      - .offset:         16
        .size:           4
        .value_kind:     by_value
      - .offset:         20
        .size:           4
        .value_kind:     by_value
      - .offset:         24
        .size:           4
        .value_kind:     hidden_block_count_x
      - .offset:         28
        .size:           4
        .value_kind:     hidden_block_count_y
      - .offset:         32
        .size:           4
        .value_kind:     hidden_block_count_z
      - .offset:         36
        .size:           2
        .value_kind:     hidden_group_size_x
      - .offset:         38
        .size:           2
        .value_kind:     hidden_group_size_y
      - .offset:         40
        .size:           2
        .value_kind:     hidden_group_size_z
      - .offset:         42
        .size:           2
        .value_kind:     hidden_remainder_x
      - .offset:         44
        .size:           2
        .value_kind:     hidden_remainder_y
      - .offset:         46
        .size:           2
        .value_kind:     hidden_remainder_z
      - .offset:         64
        .size:           8
        .value_kind:     hidden_global_offset_x
      - .offset:         72
        .size:           8
        .value_kind:     hidden_global_offset_y
      - .offset:         80
        .size:           8
        .value_kind:     hidden_global_offset_z
      - .offset:         88
        .size:           2
        .value_kind:     hidden_grid_dims
    .group_segment_fixed_size: 0
    .kernarg_segment_align: 8
    .kernarg_segment_size: 280
    .language:       OpenCL C
    .language_version:
      - 2
      - 0
    .max_flat_workgroup_size: 1024
    .name:           _Z10iDFT2D1gpuPN6thrust23THRUST_200600_302600_NS7complexIfEES3_ii
    .private_segment_fixed_size: 0
    .sgpr_count:     37
    .sgpr_spill_count: 0
    .symbol:         _Z10iDFT2D1gpuPN6thrust23THRUST_200600_302600_NS7complexIfEES3_ii.kd
    .uniform_work_group_size: 1
    .uses_dynamic_stack: false
    .vgpr_count:     30
    .vgpr_spill_count: 0
    .wavefront_size: 64
  - .agpr_count:     0
    .args:
      - .address_space:  global
        .offset:         0
        .size:           8
        .value_kind:     global_buffer
      - .address_space:  global
        .offset:         8
        .size:           8
        .value_kind:     global_buffer
      - .offset:         16
        .size:           4
        .value_kind:     by_value
      - .offset:         20
        .size:           4
        .value_kind:     by_value
      - .offset:         24
        .size:           4
        .value_kind:     hidden_block_count_x
      - .offset:         28
        .size:           4
        .value_kind:     hidden_block_count_y
      - .offset:         32
        .size:           4
        .value_kind:     hidden_block_count_z
      - .offset:         36
        .size:           2
        .value_kind:     hidden_group_size_x
      - .offset:         38
        .size:           2
        .value_kind:     hidden_group_size_y
      - .offset:         40
        .size:           2
        .value_kind:     hidden_group_size_z
      - .offset:         42
        .size:           2
        .value_kind:     hidden_remainder_x
      - .offset:         44
        .size:           2
        .value_kind:     hidden_remainder_y
      - .offset:         46
        .size:           2
        .value_kind:     hidden_remainder_z
      - .offset:         64
        .size:           8
        .value_kind:     hidden_global_offset_x
      - .offset:         72
        .size:           8
        .value_kind:     hidden_global_offset_y
      - .offset:         80
        .size:           8
        .value_kind:     hidden_global_offset_z
      - .offset:         88
        .size:           2
        .value_kind:     hidden_grid_dims
    .group_segment_fixed_size: 0
    .kernarg_segment_align: 8
    .kernarg_segment_size: 280
    .language:       OpenCL C
    .language_version:
      - 2
      - 0
    .max_flat_workgroup_size: 1024
    .name:           _Z10iDFT2D2gpuPN6thrust23THRUST_200600_302600_NS7complexIfEEPfii
    .private_segment_fixed_size: 0
    .sgpr_count:     34
    .sgpr_spill_count: 0
    .symbol:         _Z10iDFT2D2gpuPN6thrust23THRUST_200600_302600_NS7complexIfEEPfii.kd
    .uniform_work_group_size: 1
    .uses_dynamic_stack: false
    .vgpr_count:     29
    .vgpr_spill_count: 0
    .wavefront_size: 64
amdhsa.target:   amdgcn-amd-amdhsa--gfx950
amdhsa.version:
  - 1
  - 2
...

	.end_amdgpu_metadata
